;; amdgpu-corpus repo=ROCm/MIOpen kind=compiled arch=gfx90a opt=O3
	.text
	.amdgcn_target "amdgcn-amd-amdhsa--gfx90a"
	.amdhsa_code_object_version 6
	.protected	AdamContiguous          ; -- Begin function AdamContiguous
	.globl	AdamContiguous
	.p2align	8
	.type	AdamContiguous,@function
AdamContiguous:                         ; @AdamContiguous
; %bb.0:
	s_load_dword s2, s[4:5], 0x7c
	s_load_dwordx2 s[34:35], s[4:5], 0x68
	s_add_u32 s0, s4, 0x70
	s_addc_u32 s1, s5, 0
	v_mov_b32_e32 v1, 0
	s_waitcnt lgkmcnt(0)
	s_and_b32 s2, s2, 0xffff
	s_mul_i32 s6, s6, s2
	v_add_u32_e32 v0, s6, v0
	v_cmp_gt_u64_e32 vcc, s[34:35], v[0:1]
	s_and_saveexec_b64 s[6:7], vcc
	s_cbranch_execz .LBB0_11
; %bb.1:
	s_load_dwordx8 s[24:31], s[4:5], 0x48
	s_load_dword s3, s[4:5], 0x60
	s_load_dword s6, s[0:1], 0x0
	v_mov_b32_e32 v16, 0x3ff00000
	s_mov_b32 s8, 0x55555555
	s_waitcnt lgkmcnt(0)
	s_bitcmp1_b32 s30, 0
	v_cvt_f64_u32_e32 v[2:3], s29
	v_cmp_neq_f32_e64 vcc, s26, 1.0
	s_cselect_b64 s[30:31], -1, 0
	s_bitcmp1_b32 s3, 8
	v_cndmask_b32_e32 v9, v16, v3, vcc
	v_cndmask_b32_e32 v8, 0, v2, vcc
	s_cselect_b64 s[36:37], -1, 0
	s_bitcmp1_b32 s3, 16
	v_cvt_f64_f32_e32 v[4:5], s26
	v_cmp_neq_f64_e32 vcc, 0, v[8:9]
	s_cselect_b64 s[0:1], -1, 0
	v_cndmask_b32_e32 v7, v16, v5, vcc
	v_cndmask_b32_e32 v6, 0, v4, vcc
	s_movk_i32 s29, 0x204
	s_xor_b64 s[38:39], s[0:1], -1
	s_mul_i32 s40, s6, s2
	v_cmp_class_f64_e64 s[2:3], v[6:7], s29
	v_cmp_eq_f64_e64 s[0:1], 0, v[6:7]
	s_or_b64 vcc, s[2:3], s[0:1]
	s_and_b64 s[0:1], s[0:1], exec
	v_trunc_f64_e32 v[4:5], v[8:9]
	v_cmp_eq_f64_e64 s[0:1], v[4:5], v[8:9]
	v_mul_f64 v[4:5], v[8:9], 0.5
	v_trunc_f64_e32 v[10:11], v[4:5]
	v_cmp_neq_f64_e64 s[2:3], v[10:11], v[4:5]
	v_frexp_mant_f64_e64 v[4:5], |v[6:7]|
	s_mov_b32 s9, 0x3fe55555
	s_cselect_b32 s33, 0, 0x7ff00000
	s_and_b64 s[0:1], s[0:1], s[2:3]
	v_frexp_exp_i32_f64_e32 v10, v[6:7]
	v_cmp_gt_f64_e64 s[2:3], s[8:9], v[4:5]
	s_mov_b32 s41, 0
	v_subbrev_co_u32_e64 v6, s[6:7], 0, v10, s[2:3]
	s_and_b64 s[2:3], s[2:3], exec
	s_cselect_b32 s3, 2.0, 0x3ff00000
	s_mov_b32 s2, s41
	v_mul_f64 v[4:5], v[4:5], s[2:3]
	v_add_f64 v[18:19], v[4:5], 1.0
	v_rcp_f64_e32 v[20:21], v[18:19]
	v_add_f64 v[22:23], v[4:5], -1.0
	v_add_f64 v[28:29], v[18:19], -1.0
	v_add_f64 v[4:5], v[4:5], -v[28:29]
	v_fma_f64 v[24:25], -v[18:19], v[20:21], 1.0
	v_fmac_f64_e32 v[20:21], v[24:25], v[20:21]
	v_fma_f64 v[24:25], -v[18:19], v[20:21], 1.0
	v_fmac_f64_e32 v[20:21], v[24:25], v[20:21]
	v_mul_f64 v[24:25], v[22:23], v[20:21]
	v_mul_f64 v[26:27], v[18:19], v[24:25]
	v_fma_f64 v[18:19], v[24:25], v[18:19], -v[26:27]
	v_fmac_f64_e32 v[18:19], v[24:25], v[4:5]
	v_add_f64 v[4:5], v[26:27], v[18:19]
	v_add_f64 v[28:29], v[22:23], -v[4:5]
	v_add_f64 v[26:27], v[4:5], -v[26:27]
	;; [unrolled: 1-line block ×5, first 2 shown]
	v_add_f64 v[4:5], v[18:19], v[4:5]
	v_add_f64 v[4:5], v[28:29], v[4:5]
	v_mul_f64 v[4:5], v[20:21], v[4:5]
	v_add_f64 v[18:19], v[24:25], v[4:5]
	v_add_f64 v[24:25], v[18:19], -v[24:25]
	v_mul_f64 v[22:23], v[18:19], v[18:19]
	v_add_f64 v[24:25], v[4:5], -v[24:25]
	v_add_f64 v[4:5], v[24:25], v[24:25]
	v_fma_f64 v[26:27], v[18:19], v[18:19], -v[22:23]
	v_fmac_f64_e32 v[26:27], v[18:19], v[4:5]
	v_add_f64 v[28:29], v[22:23], v[26:27]
	s_mov_b32 s2, 0x968915a9
	v_add_f64 v[4:5], v[28:29], -v[22:23]
	s_mov_b32 s3, 0x3fba6564
	s_mov_b32 s14, 0x4222de17
	v_add_f64 v[22:23], v[26:27], -v[4:5]
	s_mov_b32 s15, 0x3fbdee67
	v_pk_mov_b32 v[4:5], s[2:3], s[2:3] op_sel:[0,1]
	s_mov_b32 s16, 0x3abe935a
	v_fma_f64 v[32:33], s[14:15], v[28:29], v[4:5]
	s_mov_b32 s17, 0x3fbe25e4
	s_mov_b32 s18, 0x47e6c9c2
	v_fma_f64 v[32:33], v[28:29], v[32:33], s[16:17]
	s_mov_b32 s19, 0x3fc110ef
	;; [unrolled: 3-line block ×7, first 2 shown]
	v_mul_f64 v[30:31], v[18:19], v[28:29]
	v_fma_f64 v[32:33], v[28:29], v[32:33], s[50:51]
	v_fma_f64 v[26:27], v[28:29], v[18:19], -v[30:31]
	v_mul_f64 v[34:35], v[28:29], v[32:33]
	v_fmac_f64_e32 v[26:27], v[28:29], v[24:25]
	v_fma_f64 v[28:29], v[28:29], v[32:33], -v[34:35]
	v_fmac_f64_e32 v[28:29], v[22:23], v[32:33]
	v_fmac_f64_e32 v[26:27], v[22:23], v[18:19]
	v_add_f64 v[22:23], v[34:35], v[28:29]
	v_add_f64 v[32:33], v[22:23], s[8:9]
	v_add_f64 v[34:35], v[22:23], -v[34:35]
	s_mov_b32 s54, 0xd5df274d
	s_mov_b32 s57, 0xbfe55555
	;; [unrolled: 1-line block ×3, first 2 shown]
	v_add_f64 v[28:29], v[28:29], -v[34:35]
	s_mov_b32 s55, 0x3c8543b0
	v_add_f64 v[34:35], v[32:33], s[56:57]
	v_add_f64 v[28:29], v[28:29], s[54:55]
	v_add_f64 v[22:23], v[22:23], -v[34:35]
	v_ldexp_f64 v[20:21], v[18:19], 1
	v_add_f64 v[18:19], v[30:31], v[26:27]
	v_add_f64 v[22:23], v[28:29], v[22:23]
	;; [unrolled: 1-line block ×3, first 2 shown]
	v_add_f64 v[30:31], v[18:19], -v[30:31]
	v_mul_f64 v[34:35], v[18:19], v[28:29]
	v_add_f64 v[26:27], v[26:27], -v[30:31]
	v_add_f64 v[30:31], v[32:33], -v[28:29]
	v_add_f64 v[22:23], v[22:23], v[30:31]
	v_fma_f64 v[30:31], v[18:19], v[28:29], -v[34:35]
	v_fmac_f64_e32 v[30:31], v[18:19], v[22:23]
	v_fmac_f64_e32 v[30:31], v[26:27], v[28:29]
	s_mov_b32 s10, 0xfefa39ef
	v_add_f64 v[18:19], v[34:35], v[30:31]
	v_cvt_f64_i32_e32 v[14:15], v6
	s_mov_b32 s11, 0x3fe62e42
	v_add_f64 v[22:23], v[20:21], v[18:19]
	v_add_f64 v[26:27], v[18:19], -v[34:35]
	v_mul_f64 v[10:11], v[14:15], s[10:11]
	s_mov_b32 s12, 0x3b39803f
	v_ldexp_f64 v[24:25], v[24:25], 1
	v_add_f64 v[26:27], v[30:31], -v[26:27]
	v_add_f64 v[20:21], v[22:23], -v[20:21]
	v_fma_f64 v[12:13], v[14:15], s[10:11], -v[10:11]
	s_mov_b32 s13, 0x3c7abc9e
	v_add_f64 v[24:25], v[24:25], v[26:27]
	v_add_f64 v[18:19], v[18:19], -v[20:21]
	v_fmac_f64_e32 v[12:13], s[12:13], v[14:15]
	v_add_f64 v[18:19], v[24:25], v[18:19]
	v_add_f64 v[14:15], v[10:11], v[12:13]
	;; [unrolled: 1-line block ×4, first 2 shown]
	v_add_f64 v[10:11], v[14:15], -v[10:11]
	v_add_f64 v[10:11], v[12:13], -v[10:11]
	;; [unrolled: 1-line block ×7, first 2 shown]
	v_add_f64 v[18:19], v[10:11], v[12:13]
	v_add_f64 v[14:15], v[14:15], -v[22:23]
	v_add_f64 v[14:15], v[20:21], v[14:15]
	v_add_f64 v[22:23], v[18:19], -v[10:11]
	;; [unrolled: 2-line block ×4, first 2 shown]
	v_add_f64 v[10:11], v[10:11], -v[18:19]
	v_add_f64 v[10:11], v[12:13], v[10:11]
	v_add_f64 v[12:13], v[20:21], -v[24:25]
	v_add_f64 v[12:13], v[14:15], -v[12:13]
	v_add_f64 v[10:11], v[10:11], v[12:13]
	v_add_f64 v[12:13], v[20:21], v[10:11]
	v_mul_f64 v[14:15], v[8:9], v[12:13]
	v_add_f64 v[18:19], v[12:13], -v[20:21]
	v_add_f64 v[10:11], v[10:11], -v[18:19]
	v_fma_f64 v[12:13], v[8:9], v[12:13], -v[14:15]
	v_fmac_f64_e32 v[12:13], v[8:9], v[10:11]
	v_add_f64 v[18:19], v[14:15], v[12:13]
	v_cmp_class_f64_e64 s[2:3], v[14:15], s29
	s_mov_b32 s48, 0x652b82fe
	v_cndmask_b32_e64 v21, v19, v15, s[2:3]
	v_cndmask_b32_e64 v20, v18, v14, s[2:3]
	s_mov_b32 s49, 0x3ff71547
	v_mul_f64 v[8:9], v[20:21], s[48:49]
	v_rndne_f64_e32 v[10:11], v[8:9]
	s_mov_b32 s53, 0xbfe62e42
	s_mov_b32 s52, s10
	;; [unrolled: 1-line block ×3, first 2 shown]
	v_fma_f64 v[22:23], s[52:53], v[10:11], v[20:21]
	s_mov_b32 s59, 0xbc7abc9e
	s_mov_b32 s58, s12
	;; [unrolled: 1-line block ×4, first 2 shown]
	v_fmac_f64_e32 v[22:23], s[58:59], v[10:11]
	s_mov_b32 s61, 0x3e5ade15
	v_pk_mov_b32 v[8:9], s[2:3], s[2:3] op_sel:[0,1]
	s_mov_b32 s62, 0x623fde64
	v_fma_f64 v[24:25], s[60:61], v[22:23], v[8:9]
	s_mov_b32 s63, 0x3ec71dee
	s_mov_b32 s64, 0x7c89e6b0
	v_fma_f64 v[24:25], v[22:23], v[24:25], s[62:63]
	s_mov_b32 s65, 0x3efa0199
	;; [unrolled: 3-line block ×8, first 2 shown]
	v_fma_f64 v[24:25], v[22:23], v[24:25], s[78:79]
	v_fma_f64 v[24:25], v[22:23], v[24:25], 1.0
	v_fma_f64 v[22:23], v[22:23], v[24:25], 1.0
	v_cvt_i32_f64_e32 v6, v[10:11]
	s_mov_b32 s46, 0
	v_ldexp_f64 v[22:23], v[22:23], v6
	s_mov_b32 s76, 0
	s_mov_b32 s47, 0x40900000
	v_and_b32_e32 v11, 0x7fffffff, v23
	v_mov_b32_e32 v10, v22
	s_mov_b32 s77, 0x7ff00000
	v_cmp_lt_f64_e64 s[2:3], s[46:47], v[20:21]
	v_cmp_eq_f64_e64 s[6:7], s[76:77], v[10:11]
	v_mov_b32_e32 v11, 0x7ff00000
	v_add_f64 v[14:15], v[18:19], -v[14:15]
	s_mov_b32 s80, 0
	v_cndmask_b32_e64 v6, v22, 0, s[2:3]
	s_or_b64 s[6:7], s[2:3], s[6:7]
	v_cndmask_b32_e64 v10, v23, v11, s[2:3]
	v_add_f64 v[12:13], v[12:13], -v[14:15]
	v_cmp_neq_f64_e64 s[2:3], |v[20:21]|, s[76:77]
	s_mov_b32 s81, 0xc090cc00
	v_cndmask_b32_e64 v13, 0, v13, s[2:3]
	v_cndmask_b32_e64 v12, 0, v12, s[2:3]
	v_cmp_ngt_f64_e64 s[2:3], s[80:81], v[20:21]
	v_cndmask_b32_e64 v15, 0, v10, s[2:3]
	v_cndmask_b32_e64 v14, 0, v6, s[2:3]
	v_pk_mov_b32 v[18:19], v[14:15], v[14:15] op_sel:[0,1]
	v_fmac_f64_e32 v[18:19], v[18:19], v[12:13]
	s_and_b64 s[2:3], s[2:3], s[6:7]
	v_cndmask_b32_e64 v10, v19, v15, s[2:3]
	v_cndmask_b32_e64 v12, 0, v7, s[0:1]
	;; [unrolled: 1-line block ×3, first 2 shown]
	v_mov_b32_e32 v13, s33
	s_brev_b32 s82, -2
	v_cndmask_b32_e64 v6, v18, v14, s[2:3]
	v_bfi_b32 v12, s82, v13, v12
	v_bfi_b32 v7, s82, v10, v7
	v_cndmask_b32_e64 v6, v6, 0, vcc
	v_cndmask_b32_e32 v7, v7, v12, vcc
	v_add_f64 v[6:7], -v[6:7], 1.0
	v_cvt_f32_f64_e32 v6, v[6:7]
	s_mov_b32 s33, 0xf800000
	v_mul_f32_e32 v7, 0x4f800000, v6
	v_cmp_gt_f32_e32 vcc, s33, v6
	v_cndmask_b32_e32 v12, v6, v7, vcc
	v_sqrt_f32_e32 v6, v12
	v_add_u32_e32 v7, -1, v6
	v_fma_f32 v10, -v7, v6, v12
	v_cmp_ge_f32_e64 s[0:1], 0, v10
	v_add_u32_e32 v10, 1, v6
	v_cndmask_b32_e64 v7, v6, v7, s[0:1]
	v_fma_f32 v6, -v10, v6, v12
	v_cmp_lt_f32_e64 s[0:1], 0, v6
	v_cndmask_b32_e64 v6, v7, v10, s[0:1]
	v_mul_f32_e32 v7, 0x37800000, v6
	v_cndmask_b32_e32 v13, v6, v7, vcc
	v_cmp_neq_f32_e64 vcc, s25, 1.0
	v_cndmask_b32_e32 v7, v16, v3, vcc
	v_cndmask_b32_e32 v6, 0, v2, vcc
	v_cvt_f64_f32_e32 v[2:3], s25
	v_cmp_neq_f64_e32 vcc, 0, v[6:7]
	v_cndmask_b32_e32 v3, v16, v3, vcc
	v_cndmask_b32_e32 v2, 0, v2, vcc
	v_cmp_class_f64_e64 s[2:3], v[2:3], s29
	v_cmp_eq_f64_e64 s[0:1], 0, v[2:3]
	v_frexp_mant_f64_e64 v[14:15], |v[2:3]|
	s_or_b64 vcc, s[2:3], s[0:1]
	v_frexp_exp_i32_f64_e32 v10, v[2:3]
	v_cmp_gt_f64_e64 s[2:3], s[8:9], v[14:15]
	s_and_b64 s[0:1], s[0:1], exec
	v_subbrev_co_u32_e64 v2, s[0:1], 0, v10, s[2:3]
	v_cvt_f64_i32_e32 v[18:19], v2
	v_mul_f64 v[20:21], v[18:19], s[10:11]
	v_fma_f64 v[22:23], v[18:19], s[10:11], -v[20:21]
	v_mul_f64 v[24:25], v[6:7], 0.5
	v_fmac_f64_e32 v[22:23], s[12:13], v[18:19]
	v_trunc_f64_e32 v[18:19], v[6:7]
	v_trunc_f64_e32 v[26:27], v[24:25]
	v_cmp_eq_f64_e64 s[0:1], v[18:19], v[6:7]
	v_cmp_neq_f64_e64 s[6:7], v[26:27], v[24:25]
	s_cselect_b32 s83, 0, 0x7ff00000
	s_and_b64 s[0:1], s[0:1], s[6:7]
	s_and_b64 s[2:3], s[2:3], exec
	s_cselect_b32 s3, 2.0, 0x3ff00000
	s_mov_b32 s2, s41
	v_mul_f64 v[14:15], v[14:15], s[2:3]
	v_add_f64 v[18:19], v[14:15], 1.0
	v_rcp_f64_e32 v[24:25], v[18:19]
	v_add_f64 v[26:27], v[14:15], -1.0
	v_add_f64 v[32:33], v[18:19], -1.0
	v_add_f64 v[14:15], v[14:15], -v[32:33]
	v_fma_f64 v[28:29], -v[18:19], v[24:25], 1.0
	v_fmac_f64_e32 v[24:25], v[28:29], v[24:25]
	v_fma_f64 v[28:29], -v[18:19], v[24:25], 1.0
	v_fmac_f64_e32 v[24:25], v[28:29], v[24:25]
	v_mul_f64 v[28:29], v[26:27], v[24:25]
	v_mul_f64 v[30:31], v[18:19], v[28:29]
	v_fma_f64 v[18:19], v[28:29], v[18:19], -v[30:31]
	v_fmac_f64_e32 v[18:19], v[28:29], v[14:15]
	v_add_f64 v[14:15], v[30:31], v[18:19]
	v_add_f64 v[32:33], v[26:27], -v[14:15]
	v_add_f64 v[30:31], v[14:15], -v[30:31]
	;; [unrolled: 1-line block ×5, first 2 shown]
	v_add_f64 v[14:15], v[18:19], v[14:15]
	v_add_f64 v[14:15], v[32:33], v[14:15]
	v_mul_f64 v[14:15], v[24:25], v[14:15]
	v_add_f64 v[18:19], v[28:29], v[14:15]
	v_add_f64 v[26:27], v[18:19], -v[28:29]
	v_mul_f64 v[24:25], v[18:19], v[18:19]
	v_add_f64 v[14:15], v[14:15], -v[26:27]
	v_add_f64 v[26:27], v[14:15], v[14:15]
	v_fma_f64 v[28:29], v[18:19], v[18:19], -v[24:25]
	v_fmac_f64_e32 v[28:29], v[18:19], v[26:27]
	v_add_f64 v[26:27], v[24:25], v[28:29]
	v_fmac_f64_e32 v[4:5], s[14:15], v[26:27]
	v_fma_f64 v[4:5], v[26:27], v[4:5], s[16:17]
	v_fma_f64 v[4:5], v[26:27], v[4:5], s[18:19]
	;; [unrolled: 1-line block ×6, first 2 shown]
	v_add_f64 v[24:25], v[26:27], -v[24:25]
	v_fma_f64 v[4:5], v[26:27], v[4:5], s[50:51]
	v_add_f64 v[24:25], v[28:29], -v[24:25]
	v_mul_f64 v[28:29], v[26:27], v[4:5]
	v_fma_f64 v[30:31], v[26:27], v[4:5], -v[28:29]
	v_fmac_f64_e32 v[30:31], v[24:25], v[4:5]
	v_add_f64 v[32:33], v[28:29], v[30:31]
	v_mul_f64 v[40:41], v[18:19], v[26:27]
	v_add_f64 v[34:35], v[32:33], s[8:9]
	v_add_f64 v[4:5], v[32:33], -v[28:29]
	v_fma_f64 v[42:43], v[26:27], v[18:19], -v[40:41]
	v_add_f64 v[4:5], v[30:31], -v[4:5]
	v_add_f64 v[30:31], v[34:35], s[56:57]
	v_fmac_f64_e32 v[42:43], v[26:27], v[14:15]
	v_add_f64 v[28:29], v[4:5], s[54:55]
	v_fmac_f64_e32 v[42:43], v[24:25], v[18:19]
	v_add_f64 v[24:25], v[32:33], -v[30:31]
	v_add_f64 v[24:25], v[28:29], v[24:25]
	v_ldexp_f64 v[38:39], v[18:19], 1
	v_add_f64 v[18:19], v[40:41], v[42:43]
	v_add_f64 v[26:27], v[34:35], v[24:25]
	v_mul_f64 v[28:29], v[18:19], v[26:27]
	v_add_f64 v[32:33], v[34:35], -v[26:27]
	v_add_f64 v[30:31], v[18:19], -v[40:41]
	v_add_f64 v[24:25], v[24:25], v[32:33]
	v_fma_f64 v[32:33], v[18:19], v[26:27], -v[28:29]
	v_add_f64 v[30:31], v[42:43], -v[30:31]
	v_fmac_f64_e32 v[32:33], v[18:19], v[24:25]
	v_fmac_f64_e32 v[32:33], v[30:31], v[26:27]
	v_add_f64 v[18:19], v[28:29], v[32:33]
	v_add_f64 v[26:27], v[18:19], -v[28:29]
	v_add_f64 v[24:25], v[38:39], v[18:19]
	v_ldexp_f64 v[14:15], v[14:15], 1
	v_add_f64 v[26:27], v[32:33], -v[26:27]
	v_add_f64 v[14:15], v[14:15], v[26:27]
	v_add_f64 v[26:27], v[24:25], -v[38:39]
	v_add_f64 v[18:19], v[18:19], -v[26:27]
	v_add_f64 v[14:15], v[14:15], v[18:19]
	v_add_f64 v[36:37], v[20:21], v[22:23]
	;; [unrolled: 1-line block ×4, first 2 shown]
	v_add_f64 v[20:21], v[36:37], -v[20:21]
	v_add_f64 v[20:21], v[22:23], -v[20:21]
	;; [unrolled: 1-line block ×7, first 2 shown]
	v_add_f64 v[22:23], v[20:21], v[14:15]
	v_add_f64 v[24:25], v[36:37], -v[24:25]
	v_add_f64 v[18:19], v[18:19], v[24:25]
	v_add_f64 v[28:29], v[22:23], -v[20:21]
	;; [unrolled: 2-line block ×4, first 2 shown]
	v_add_f64 v[20:21], v[20:21], -v[22:23]
	v_add_f64 v[14:15], v[14:15], v[20:21]
	v_add_f64 v[20:21], v[24:25], -v[26:27]
	v_add_f64 v[18:19], v[18:19], -v[20:21]
	v_add_f64 v[14:15], v[14:15], v[18:19]
	v_add_f64 v[18:19], v[24:25], v[14:15]
	v_mul_f64 v[20:21], v[6:7], v[18:19]
	v_add_f64 v[22:23], v[18:19], -v[24:25]
	v_add_f64 v[14:15], v[14:15], -v[22:23]
	v_fma_f64 v[18:19], v[6:7], v[18:19], -v[20:21]
	v_fmac_f64_e32 v[18:19], v[6:7], v[14:15]
	v_add_f64 v[6:7], v[20:21], v[18:19]
	v_cmp_class_f64_e64 s[2:3], v[20:21], s29
	v_cndmask_b32_e64 v15, v7, v21, s[2:3]
	v_cndmask_b32_e64 v14, v6, v20, s[2:3]
	v_mul_f64 v[22:23], v[14:15], s[48:49]
	v_rndne_f64_e32 v[22:23], v[22:23]
	v_fma_f64 v[24:25], s[52:53], v[22:23], v[14:15]
	v_fmac_f64_e32 v[24:25], s[58:59], v[22:23]
	v_fmac_f64_e32 v[8:9], s[60:61], v[24:25]
	v_fma_f64 v[8:9], v[24:25], v[8:9], s[62:63]
	v_fma_f64 v[8:9], v[24:25], v[8:9], s[64:65]
	v_fma_f64 v[8:9], v[24:25], v[8:9], s[66:67]
	v_fma_f64 v[8:9], v[24:25], v[8:9], s[68:69]
	v_fma_f64 v[8:9], v[24:25], v[8:9], s[70:71]
	v_fma_f64 v[8:9], v[24:25], v[8:9], s[72:73]
	v_fma_f64 v[8:9], v[24:25], v[8:9], s[74:75]
	v_mov_b32_e32 v2, s27
	v_fma_f64 v[8:9], v[24:25], v[8:9], s[78:79]
	v_mul_f32_e32 v4, s24, v2
	v_cndmask_b32_e64 v2, 0, v3, s[0:1]
	v_mov_b32_e32 v17, s83
	v_fma_f64 v[8:9], v[24:25], v[8:9], 1.0
	v_bfi_b32 v17, s82, v17, v2
	v_fma_f64 v[8:9], v[24:25], v[8:9], 1.0
	v_cvt_i32_f64_e32 v2, v[22:23]
	v_ldexp_f64 v[8:9], v[8:9], v2
	v_and_b32_e32 v23, 0x7fffffff, v9
	v_mov_b32_e32 v22, v8
	s_load_dwordx16 s[8:23], s[4:5], 0x0
	s_load_dwordx2 s[6:7], s[4:5], 0x40
	v_cmp_eq_f64_e64 s[2:3], s[76:77], v[22:23]
	v_cmp_lt_f64_e64 s[4:5], s[46:47], v[14:15]
	v_cndmask_b32_e64 v2, v8, 0, s[4:5]
	s_or_b64 s[46:47], s[4:5], s[2:3]
	v_cndmask_b32_e64 v8, v9, v11, s[4:5]
	v_cmp_ngt_f64_e64 s[2:3], s[80:81], v[14:15]
	v_add_f64 v[6:7], v[6:7], -v[20:21]
	v_cndmask_b32_e64 v9, 0, v8, s[2:3]
	v_cndmask_b32_e64 v8, 0, v2, s[2:3]
	v_add_f64 v[6:7], v[18:19], -v[6:7]
	v_cmp_neq_f64_e64 s[4:5], |v[14:15]|, s[76:77]
	v_cndmask_b32_e64 v7, 0, v7, s[4:5]
	v_cndmask_b32_e64 v6, 0, v6, s[4:5]
	v_pk_mov_b32 v[14:15], v[8:9], v[8:9] op_sel:[0,1]
	v_fmac_f64_e32 v[14:15], v[14:15], v[6:7]
	s_and_b64 s[2:3], s[2:3], s[46:47]
	v_cndmask_b32_e64 v6, v15, v9, s[2:3]
	v_cndmask_b32_e64 v3, v16, v3, s[0:1]
	;; [unrolled: 1-line block ×3, first 2 shown]
	v_bfi_b32 v3, s82, v6, v3
	v_cndmask_b32_e64 v2, v2, 0, vcc
	v_cndmask_b32_e32 v3, v3, v17, vcc
	v_add_f64 v[2:3], -v[2:3], 1.0
	v_cvt_f32_f64_e32 v2, v[2:3]
	v_div_scale_f32 v3, s[0:1], v2, v2, s24
	v_rcp_f32_e32 v8, v3
	v_mov_b32_e32 v10, 0x260
	v_cmp_class_f32_e32 vcc, v12, v10
	v_cndmask_b32_e32 v6, v13, v12, vcc
	v_fma_f32 v9, -v3, v8, 1.0
	v_fmac_f32_e32 v8, v9, v8
	v_div_scale_f32 v9, vcc, s24, v2, s24
	v_mul_f32_e32 v11, v9, v8
	v_fma_f32 v12, -v3, v11, v9
	v_fmac_f32_e32 v11, v12, v8
	v_fma_f32 v3, -v3, v11, v9
	v_div_fmas_f32 v3, v3, v8, v11
	v_cmp_neq_f32_e64 s[42:43], s27, 0
	v_sub_f32_e64 v5, 1.0, s26
	s_mov_b64 s[44:45], 0
	v_sub_f32_e64 v7, 1.0, s25
	v_div_fixup_f32 v8, v3, v2, s24
	v_lshlrev_b64 v[2:3], 2, v[0:1]
	s_lshl_b64 s[2:3], s[40:41], 2
	s_branch .LBB0_3
.LBB0_2:                                ;   in Loop: Header=BB0_3 Depth=1
	v_mul_f32_e32 v15, 0x4f800000, v14
	v_cmp_gt_f32_e32 vcc, s33, v14
	v_cndmask_b32_e32 v14, v14, v15, vcc
	v_sqrt_f32_e32 v15, v14
	v_add_u32_e32 v16, -1, v15
	v_fma_f32 v18, -v16, v15, v14
	v_add_u32_e32 v17, 1, v15
	v_cmp_ge_f32_e64 s[0:1], 0, v18
	v_cndmask_b32_e64 v16, v15, v16, s[0:1]
	v_fma_f32 v15, -v17, v15, v14
	v_cmp_lt_f32_e64 s[0:1], 0, v15
	v_cndmask_b32_e64 v15, v16, v17, s[0:1]
	v_mul_f32_e32 v16, 0x37800000, v15
	v_cndmask_b32_e32 v15, v15, v16, vcc
	v_cmp_class_f32_e32 vcc, v14, v10
	v_cndmask_b32_e32 v14, v15, v14, vcc
	v_div_scale_f32 v15, s[0:1], v6, v6, v14
	v_rcp_f32_e32 v16, v15
	v_fma_f32 v17, -v15, v16, 1.0
	v_fmac_f32_e32 v16, v17, v16
	v_div_scale_f32 v17, vcc, v14, v6, v14
	v_mul_f32_e32 v18, v17, v16
	v_fma_f32 v19, -v15, v18, v17
	v_fmac_f32_e32 v18, v19, v16
	v_fma_f32 v15, -v15, v18, v17
	v_div_fmas_f32 v15, v15, v16, v18
	v_div_fixup_f32 v15, v15, v6, v14
	v_mul_f32_e32 v14, s25, v12
	v_mul_f32_e32 v12, v7, v13
	v_mov_b32_e32 v13, s28
	v_pk_add_f32 v[12:13], v[14:15], v[12:13]
	v_mul_f32_e32 v14, v8, v12
	v_div_scale_f32 v15, s[0:1], v13, v13, v14
	v_rcp_f32_e32 v16, v15
	v_fma_f32 v17, -v15, v16, 1.0
	v_fmac_f32_e32 v16, v17, v16
	v_div_scale_f32 v17, vcc, v14, v13, v14
	v_mul_f32_e32 v18, v17, v16
	v_fma_f32 v19, -v15, v18, v17
	v_fmac_f32_e32 v18, v19, v16
	v_fma_f32 v15, -v15, v18, v17
	v_div_fmas_f32 v15, v15, v16, v18
	v_div_fixup_f32 v13, v15, v13, v14
	v_sub_f32_e32 v11, v11, v13
	v_mov_b32_e32 v13, s11
	v_add_co_u32_e32 v14, vcc, s10, v2
	v_addc_co_u32_e32 v15, vcc, v13, v3, vcc
	global_store_dword v[14:15], v11, off
	v_mov_b32_e32 v11, s17
	v_add_co_u32_e32 v14, vcc, s16, v2
	v_addc_co_u32_e32 v15, vcc, v11, v3, vcc
	global_store_dword v[14:15], v12, off
	v_add_co_u32_e32 v12, vcc, s20, v2
	s_add_u32 s20, s20, s2
	v_mov_b32_e32 v11, s21
	s_addc_u32 s21, s21, s3
	s_add_u32 s16, s16, s2
	s_addc_u32 s17, s17, s3
	s_add_u32 s10, s10, s2
	;; [unrolled: 2-line block ×6, first 2 shown]
	s_addc_u32 s15, s15, s3
	v_addc_co_u32_e32 v13, vcc, v11, v3, vcc
	s_add_u32 s8, s8, s2
	v_mov_b32_e32 v11, s41
	v_add_co_u32_e32 v0, vcc, s40, v0
	s_addc_u32 s9, s9, s3
	v_addc_co_u32_e32 v1, vcc, v1, v11, vcc
	s_add_u32 s12, s12, s2
	s_addc_u32 s13, s13, s3
	v_cmp_le_u64_e32 vcc, s[34:35], v[0:1]
	s_or_b64 s[44:45], vcc, s[44:45]
	global_store_dword v[12:13], v9, off
	s_andn2_b64 exec, exec, s[44:45]
	s_cbranch_execz .LBB0_11
.LBB0_3:                                ; =>This Inner Loop Header: Depth=1
	s_waitcnt lgkmcnt(0)
	v_mov_b32_e32 v9, s13
	v_add_co_u32_e32 v12, vcc, s12, v2
	v_addc_co_u32_e32 v13, vcc, v9, v3, vcc
	global_load_dword v9, v[12:13], off
	v_mov_b32_e32 v11, s9
	v_add_co_u32_e32 v12, vcc, s8, v2
	v_addc_co_u32_e32 v13, vcc, v11, v3, vcc
	global_load_dword v11, v[12:13], off
	v_mov_b32_e32 v13, s15
	v_add_co_u32_e32 v12, vcc, s14, v2
	v_addc_co_u32_e32 v13, vcc, v13, v3, vcc
	global_load_dword v12, v[12:13], off
	v_mov_b32_e32 v13, s19
	v_add_co_u32_e32 v14, vcc, s18, v2
	v_addc_co_u32_e32 v15, vcc, v13, v3, vcc
	global_load_dword v14, v[14:15], off
	s_andn2_b64 vcc, exec, s[42:43]
	s_waitcnt vmcnt(3)
	v_cndmask_b32_e64 v13, v9, -v9, s[36:37]
	s_cbranch_vccnz .LBB0_9
; %bb.4:                                ;   in Loop: Header=BB0_3 Depth=1
	s_and_b64 vcc, exec, s[38:39]
	s_cbranch_vccz .LBB0_6
; %bb.5:                                ;   in Loop: Header=BB0_3 Depth=1
	s_waitcnt vmcnt(2)
	v_fma_f32 v9, s27, v11, v13
	s_cbranch_execz .LBB0_7
	s_branch .LBB0_8
.LBB0_6:                                ;   in Loop: Header=BB0_3 Depth=1
                                        ; implicit-def: $vgpr9
.LBB0_7:                                ;   in Loop: Header=BB0_3 Depth=1
	s_waitcnt vmcnt(2)
	v_fma_f32 v11, -v4, v11, v11
	v_mov_b32_e32 v9, v13
.LBB0_8:                                ;   in Loop: Header=BB0_3 Depth=1
	v_mov_b32_e32 v13, v9
.LBB0_9:                                ;   in Loop: Header=BB0_3 Depth=1
	v_mul_f32_e32 v9, v13, v13
	v_mul_f32_e32 v9, v5, v9
	s_waitcnt vmcnt(0)
	v_fmac_f32_e32 v9, s26, v14
	s_andn2_b64 vcc, exec, s[30:31]
	v_mov_b32_e32 v14, v9
	s_cbranch_vccnz .LBB0_2
; %bb.10:                               ;   in Loop: Header=BB0_3 Depth=1
	v_mov_b32_e32 v15, s23
	v_add_co_u32_e32 v14, vcc, s22, v2
	v_addc_co_u32_e32 v15, vcc, v15, v3, vcc
	global_load_dword v14, v[14:15], off
	v_max_f32_e32 v15, v9, v9
	v_mov_b32_e32 v17, s7
	v_add_co_u32_e32 v16, vcc, s6, v2
	v_addc_co_u32_e32 v17, vcc, v17, v3, vcc
	s_waitcnt vmcnt(0)
	v_max_f32_e32 v14, v14, v14
	v_max_f32_e32 v14, v14, v15
	global_store_dword v[16:17], v14, off
	s_branch .LBB0_2
.LBB0_11:
	s_endpgm
	.section	.rodata,"a",@progbits
	.p2align	6, 0x0
	.amdhsa_kernel AdamContiguous
		.amdhsa_group_segment_fixed_size 0
		.amdhsa_private_segment_fixed_size 0
		.amdhsa_kernarg_size 368
		.amdhsa_user_sgpr_count 6
		.amdhsa_user_sgpr_private_segment_buffer 1
		.amdhsa_user_sgpr_dispatch_ptr 0
		.amdhsa_user_sgpr_queue_ptr 0
		.amdhsa_user_sgpr_kernarg_segment_ptr 1
		.amdhsa_user_sgpr_dispatch_id 0
		.amdhsa_user_sgpr_flat_scratch_init 0
		.amdhsa_user_sgpr_kernarg_preload_length 0
		.amdhsa_user_sgpr_kernarg_preload_offset 0
		.amdhsa_user_sgpr_private_segment_size 0
		.amdhsa_uses_dynamic_stack 0
		.amdhsa_system_sgpr_private_segment_wavefront_offset 0
		.amdhsa_system_sgpr_workgroup_id_x 1
		.amdhsa_system_sgpr_workgroup_id_y 0
		.amdhsa_system_sgpr_workgroup_id_z 0
		.amdhsa_system_sgpr_workgroup_info 0
		.amdhsa_system_vgpr_workitem_id 0
		.amdhsa_next_free_vgpr 44
		.amdhsa_next_free_sgpr 84
		.amdhsa_accum_offset 44
		.amdhsa_reserve_vcc 1
		.amdhsa_reserve_flat_scratch 0
		.amdhsa_float_round_mode_32 0
		.amdhsa_float_round_mode_16_64 0
		.amdhsa_float_denorm_mode_32 3
		.amdhsa_float_denorm_mode_16_64 3
		.amdhsa_dx10_clamp 1
		.amdhsa_ieee_mode 1
		.amdhsa_fp16_overflow 0
		.amdhsa_tg_split 0
		.amdhsa_exception_fp_ieee_invalid_op 0
		.amdhsa_exception_fp_denorm_src 0
		.amdhsa_exception_fp_ieee_div_zero 0
		.amdhsa_exception_fp_ieee_overflow 0
		.amdhsa_exception_fp_ieee_underflow 0
		.amdhsa_exception_fp_ieee_inexact 0
		.amdhsa_exception_int_div_zero 0
	.end_amdhsa_kernel
	.text
.Lfunc_end0:
	.size	AdamContiguous, .Lfunc_end0-AdamContiguous
                                        ; -- End function
	.section	.AMDGPU.csdata,"",@progbits
; Kernel info:
; codeLenInByte = 4188
; NumSgprs: 88
; NumVgprs: 44
; NumAgprs: 0
; TotalNumVgprs: 44
; ScratchSize: 0
; MemoryBound: 0
; FloatMode: 240
; IeeeMode: 1
; LDSByteSize: 0 bytes/workgroup (compile time only)
; SGPRBlocks: 10
; VGPRBlocks: 5
; NumSGPRsForWavesPerEU: 88
; NumVGPRsForWavesPerEU: 44
; AccumOffset: 44
; Occupancy: 8
; WaveLimiterHint : 0
; COMPUTE_PGM_RSRC2:SCRATCH_EN: 0
; COMPUTE_PGM_RSRC2:USER_SGPR: 6
; COMPUTE_PGM_RSRC2:TRAP_HANDLER: 0
; COMPUTE_PGM_RSRC2:TGID_X_EN: 1
; COMPUTE_PGM_RSRC2:TGID_Y_EN: 0
; COMPUTE_PGM_RSRC2:TGID_Z_EN: 0
; COMPUTE_PGM_RSRC2:TIDIG_COMP_CNT: 0
; COMPUTE_PGM_RSRC3_GFX90A:ACCUM_OFFSET: 10
; COMPUTE_PGM_RSRC3_GFX90A:TG_SPLIT: 0
	.text
	.protected	AmpAdamContiguousWithStep ; -- Begin function AmpAdamContiguousWithStep
	.globl	AmpAdamContiguousWithStep
	.p2align	8
	.type	AmpAdamContiguousWithStep,@function
AmpAdamContiguousWithStep:              ; @AmpAdamContiguousWithStep
; %bb.0:
	s_load_dword s0, s[4:5], 0x94
	s_load_dwordx2 s[14:15], s[4:5], 0x80
	s_add_u32 s46, s4, 0x88
	s_addc_u32 s47, s5, 0
	v_mov_b32_e32 v3, 0
	s_waitcnt lgkmcnt(0)
	s_and_b32 s0, s0, 0xffff
	s_mul_i32 s0, s6, s0
	v_add_u32_e32 v2, s0, v0
	v_cmp_gt_u64_e32 vcc, s[14:15], v[2:3]
	s_and_saveexec_b64 s[0:1], vcc
	s_cbranch_execz .LBB1_34
; %bb.1:
	s_load_dwordx2 s[34:35], s[4:5], 0x78
	s_load_dwordx8 s[36:43], s[4:5], 0x40
	s_load_dwordx16 s[16:31], s[4:5], 0x0
	s_load_dword s33, s[46:47], 0x0
	s_waitcnt lgkmcnt(0)
	s_bitcmp1_b32 s35, 0
	s_cselect_b64 s[44:45], -1, 0
	s_cmp_eq_u64 s[42:43], 0
	s_cselect_b64 s[0:1], -1, 0
	s_and_b64 vcc, exec, s[0:1]
	s_cbranch_vccnz .LBB1_17
; %bb.2:
	v_mov_b32_e32 v3, 0
	global_load_ubyte v1, v3, s[42:43]
	s_waitcnt vmcnt(0)
	v_cmp_ne_u16_e32 vcc, 0, v1
	s_cbranch_vccz .LBB1_33
; %bb.3:
	s_cmp_lt_u32 s6, s33
	s_cselect_b32 s0, 12, 18
	s_add_u32 s0, s46, s0
	s_addc_u32 s1, s47, 0
	global_load_ushort v1, v3, s[0:1]
	s_waitcnt vmcnt(0)
	v_readfirstlane_b32 s0, v1
	v_mul_lo_u32 v1, s6, v1
	v_add_u32_e32 v2, v1, v0
	v_cmp_gt_u64_e32 vcc, s[14:15], v[2:3]
	s_and_saveexec_b64 s[42:43], vcc
	s_cbranch_execz .LBB1_16
; %bb.4:
	s_cmp_lg_u64 s[16:17], s[18:19]
	s_mul_i32 s48, s33, s0
	s_cselect_b64 s[0:1], -1, 0
	s_cmp_lg_u64 s[20:21], 0
	v_lshlrev_b64 v[6:7], 1, v[2:3]
	s_cselect_b64 s[2:3], -1, 0
	s_cmp_lg_u64 s[24:25], s[26:27]
	v_mov_b32_e32 v1, s21
	v_add_co_u32_e32 v6, vcc, s20, v6
	s_cselect_b64 s[8:9], -1, 0
	s_cmp_lg_u64 s[28:29], s[30:31]
	v_addc_co_u32_e32 v7, vcc, v1, v7, vcc
	v_cndmask_b32_e64 v1, 0, 1, s[0:1]
	s_cselect_b64 s[10:11], -1, 0
	s_cmp_lg_u64 s[36:37], s[38:39]
	v_cmp_ne_u32_e64 s[0:1], 1, v1
	v_cndmask_b32_e64 v1, 0, 1, s[2:3]
	s_cselect_b64 s[56:57], -1, 0
	v_cmp_ne_u32_e64 s[2:3], 1, v1
	v_cndmask_b32_e64 v1, 0, 1, s[8:9]
	s_mov_b32 s49, 0
	v_cmp_ne_u32_e64 s[12:13], 1, v1
	v_cndmask_b32_e64 v1, 0, 1, s[10:11]
	s_and_b64 s[10:11], s[56:57], s[44:45]
	s_lshl_b64 s[54:55], s[48:49], 1
	v_cndmask_b32_e64 v9, 0, 1, s[10:11]
	s_mov_b64 s[50:51], 0
	v_lshlrev_b64 v[4:5], 2, v[2:3]
	s_lshl_b64 s[52:53], s[48:49], 2
	v_cmp_ne_u32_e64 s[8:9], 1, v1
	v_mov_b32_e32 v1, s49
	v_mov_b32_e32 v8, s55
	v_cmp_ne_u32_e64 s[10:11], 1, v9
	s_mov_b64 s[56:57], s[38:39]
	s_mov_b64 s[58:59], s[36:37]
	;; [unrolled: 1-line block ×8, first 2 shown]
	s_branch .LBB1_6
.LBB1_5:                                ;   in Loop: Header=BB1_6 Depth=1
	s_add_u32 s70, s70, s52
	s_addc_u32 s71, s71, s53
	s_add_u32 s68, s68, s52
	s_addc_u32 s69, s69, s53
	;; [unrolled: 2-line block ×6, first 2 shown]
	s_add_u32 s58, s58, s52
	v_add_co_u32_e32 v2, vcc, s48, v2
	s_addc_u32 s59, s59, s53
	v_addc_co_u32_e32 v3, vcc, v3, v1, vcc
	s_add_u32 s56, s56, s52
	s_addc_u32 s57, s57, s53
	v_cmp_le_u64_e32 vcc, s[14:15], v[2:3]
	s_or_b64 s[50:51], vcc, s[50:51]
	v_add_co_u32_e32 v6, vcc, s54, v6
	v_addc_co_u32_e32 v7, vcc, v7, v8, vcc
	s_andn2_b64 exec, exec, s[50:51]
	s_cbranch_execz .LBB1_16
.LBB1_6:                                ; =>This Inner Loop Header: Depth=1
	s_and_b64 vcc, exec, s[0:1]
	s_cbranch_vccnz .LBB1_8
; %bb.7:                                ;   in Loop: Header=BB1_6 Depth=1
	v_mov_b32_e32 v9, s71
	v_add_co_u32_e32 v10, vcc, s70, v4
	v_addc_co_u32_e32 v11, vcc, v9, v5, vcc
	global_load_dword v9, v[10:11], off
	v_mov_b32_e32 v11, s69
	v_add_co_u32_e32 v10, vcc, s68, v4
	v_addc_co_u32_e32 v11, vcc, v11, v5, vcc
	s_waitcnt vmcnt(0)
	global_store_dword v[10:11], v9, off
.LBB1_8:                                ;   in Loop: Header=BB1_6 Depth=1
	s_and_b64 vcc, exec, s[2:3]
	s_cbranch_vccnz .LBB1_10
; %bb.9:                                ;   in Loop: Header=BB1_6 Depth=1
	v_mov_b32_e32 v9, s71
	v_add_co_u32_e32 v10, vcc, s70, v4
	v_addc_co_u32_e32 v11, vcc, v9, v5, vcc
	global_load_dword v9, v[10:11], off
	s_waitcnt vmcnt(0)
	v_cvt_f16_f32_e32 v9, v9
	global_store_short v[6:7], v9, off
.LBB1_10:                               ;   in Loop: Header=BB1_6 Depth=1
	s_and_b64 vcc, exec, s[12:13]
	s_cbranch_vccnz .LBB1_12
; %bb.11:                               ;   in Loop: Header=BB1_6 Depth=1
	v_mov_b32_e32 v9, s67
	v_add_co_u32_e32 v10, vcc, s66, v4
	v_addc_co_u32_e32 v11, vcc, v9, v5, vcc
	global_load_dword v9, v[10:11], off
	v_mov_b32_e32 v11, s65
	v_add_co_u32_e32 v10, vcc, s64, v4
	v_addc_co_u32_e32 v11, vcc, v11, v5, vcc
	s_waitcnt vmcnt(0)
	global_store_dword v[10:11], v9, off
.LBB1_12:                               ;   in Loop: Header=BB1_6 Depth=1
	s_and_b64 vcc, exec, s[8:9]
	s_cbranch_vccnz .LBB1_14
; %bb.13:                               ;   in Loop: Header=BB1_6 Depth=1
	v_mov_b32_e32 v9, s63
	v_add_co_u32_e32 v10, vcc, s62, v4
	v_addc_co_u32_e32 v11, vcc, v9, v5, vcc
	global_load_dword v9, v[10:11], off
	v_mov_b32_e32 v11, s61
	v_add_co_u32_e32 v10, vcc, s60, v4
	v_addc_co_u32_e32 v11, vcc, v11, v5, vcc
	s_waitcnt vmcnt(0)
	global_store_dword v[10:11], v9, off
.LBB1_14:                               ;   in Loop: Header=BB1_6 Depth=1
	s_and_b64 vcc, exec, s[10:11]
	s_cbranch_vccnz .LBB1_5
; %bb.15:                               ;   in Loop: Header=BB1_6 Depth=1
	v_mov_b32_e32 v9, s59
	v_add_co_u32_e32 v10, vcc, s58, v4
	v_addc_co_u32_e32 v11, vcc, v9, v5, vcc
	global_load_dword v9, v[10:11], off
	v_mov_b32_e32 v11, s57
	v_add_co_u32_e32 v10, vcc, s56, v4
	v_addc_co_u32_e32 v11, vcc, v11, v5, vcc
	s_waitcnt vmcnt(0)
	global_store_dword v[10:11], v9, off
	s_branch .LBB1_5
.LBB1_16:
	s_or_b64 exec, exec, s[42:43]
	s_mov_b64 s[0:1], 0
.LBB1_17:
	s_and_b64 vcc, exec, s[0:1]
	s_cbranch_vccz .LBB1_34
.LBB1_18:
	s_cmp_lt_u32 s6, s33
	s_cselect_b32 s0, 12, 18
	s_add_u32 s0, s46, s0
	s_addc_u32 s1, s47, 0
	v_mov_b32_e32 v1, 0
	global_load_ushort v2, v1, s[0:1]
	s_load_dwordx2 s[2:3], s[4:5], 0x60
	s_cmp_eq_u64 s[40:41], 0
	s_cselect_b64 s[0:1], -1, 0
	v_mov_b32_e32 v16, 1.0
	s_and_b64 vcc, exec, s[0:1]
	s_waitcnt vmcnt(0)
	v_readfirstlane_b32 s7, v2
	s_cbranch_vccnz .LBB1_20
; %bb.19:
	s_load_dword s8, s[40:41], 0x0
	s_waitcnt lgkmcnt(0)
	v_cvt_f32_i32_e32 v16, s8
.LBB1_20:
	s_and_b32 s12, 0xffff, s7
	s_mul_i32 s6, s6, s12
	v_add_u32_e32 v0, s6, v0
	v_cmp_gt_u64_e32 vcc, s[14:15], v[0:1]
	s_and_b64 exec, exec, vcc
	s_cbranch_execz .LBB1_34
; %bb.21:
	s_waitcnt lgkmcnt(0)
	s_load_dword s6, s[2:3], 0x0
	s_load_dword s7, s[4:5], 0x7c
	s_load_dwordx4 s[8:11], s[4:5], 0x68
	v_mov_b32_e32 v17, 0x3ff00000
	s_movk_i32 s60, 0x204
	s_waitcnt lgkmcnt(0)
	s_add_i32 s6, s6, 1
	v_cvt_f64_u32_e32 v[2:3], s6
	v_cmp_neq_f32_e64 vcc, s10, 1.0
	s_bitcmp1_b32 s7, 8
	v_cndmask_b32_e32 v9, v17, v3, vcc
	v_cndmask_b32_e32 v8, 0, v2, vcc
	s_cselect_b64 s[40:41], -1, 0
	s_bitcmp1_b32 s7, 16
	v_cvt_f64_f32_e32 v[4:5], s10
	v_cmp_neq_f64_e32 vcc, 0, v[8:9]
	s_cselect_b64 s[2:3], -1, 0
	v_cndmask_b32_e32 v7, v17, v5, vcc
	v_cndmask_b32_e32 v6, 0, v4, vcc
	s_xor_b64 s[42:43], s[2:3], -1
	v_cmp_class_f64_e64 s[4:5], v[6:7], s60
	v_cmp_eq_f64_e64 s[2:3], 0, v[6:7]
	s_or_b64 vcc, s[4:5], s[2:3]
	s_and_b64 s[2:3], s[2:3], exec
	v_trunc_f64_e32 v[4:5], v[8:9]
	v_cmp_eq_f64_e64 s[2:3], v[4:5], v[8:9]
	v_mul_f64 v[4:5], v[8:9], 0.5
	v_trunc_f64_e32 v[10:11], v[4:5]
	s_mov_b32 s46, 0x55555555
	v_cmp_neq_f64_e64 s[4:5], v[10:11], v[4:5]
	v_frexp_mant_f64_e64 v[4:5], |v[6:7]|
	s_mov_b32 s47, 0x3fe55555
	s_cselect_b32 s35, 0, 0x7ff00000
	s_and_b64 s[2:3], s[2:3], s[4:5]
	v_frexp_exp_i32_f64_e32 v10, v[6:7]
	v_cmp_gt_f64_e64 s[4:5], s[46:47], v[4:5]
	s_mov_b32 s13, 0
	v_subbrev_co_u32_e64 v6, s[6:7], 0, v10, s[4:5]
	s_and_b64 s[4:5], s[4:5], exec
	s_cselect_b32 s5, 2.0, 0x3ff00000
	s_mov_b32 s4, s13
	v_mul_f64 v[4:5], v[4:5], s[4:5]
	v_add_f64 v[18:19], v[4:5], 1.0
	v_rcp_f64_e32 v[20:21], v[18:19]
	v_add_f64 v[22:23], v[4:5], -1.0
	v_add_f64 v[28:29], v[18:19], -1.0
	v_add_f64 v[4:5], v[4:5], -v[28:29]
	v_fma_f64 v[24:25], -v[18:19], v[20:21], 1.0
	v_fmac_f64_e32 v[20:21], v[24:25], v[20:21]
	v_fma_f64 v[24:25], -v[18:19], v[20:21], 1.0
	v_fmac_f64_e32 v[20:21], v[24:25], v[20:21]
	v_mul_f64 v[24:25], v[22:23], v[20:21]
	v_mul_f64 v[26:27], v[18:19], v[24:25]
	v_fma_f64 v[18:19], v[24:25], v[18:19], -v[26:27]
	v_fmac_f64_e32 v[18:19], v[24:25], v[4:5]
	v_add_f64 v[4:5], v[26:27], v[18:19]
	v_add_f64 v[28:29], v[22:23], -v[4:5]
	v_add_f64 v[26:27], v[4:5], -v[26:27]
	;; [unrolled: 1-line block ×5, first 2 shown]
	v_add_f64 v[4:5], v[18:19], v[4:5]
	v_add_f64 v[4:5], v[28:29], v[4:5]
	v_mul_f64 v[4:5], v[20:21], v[4:5]
	v_add_f64 v[18:19], v[24:25], v[4:5]
	v_add_f64 v[24:25], v[18:19], -v[24:25]
	v_mul_f64 v[22:23], v[18:19], v[18:19]
	v_add_f64 v[24:25], v[4:5], -v[24:25]
	v_add_f64 v[4:5], v[24:25], v[24:25]
	v_fma_f64 v[26:27], v[18:19], v[18:19], -v[22:23]
	v_fmac_f64_e32 v[26:27], v[18:19], v[4:5]
	v_add_f64 v[28:29], v[22:23], v[26:27]
	s_mov_b32 s4, 0x968915a9
	v_add_f64 v[4:5], v[28:29], -v[22:23]
	s_mov_b32 s5, 0x3fba6564
	s_mov_b32 s6, 0x4222de17
	v_add_f64 v[22:23], v[26:27], -v[4:5]
	s_mov_b32 s7, 0x3fbdee67
	v_pk_mov_b32 v[4:5], s[4:5], s[4:5] op_sel:[0,1]
	s_mov_b32 s4, 0x3abe935a
	v_fma_f64 v[32:33], s[6:7], v[28:29], v[4:5]
	s_mov_b32 s5, 0x3fbe25e4
	v_fma_f64 v[32:33], v[28:29], v[32:33], s[4:5]
	s_mov_b32 s4, 0x47e6c9c2
	s_mov_b32 s5, 0x3fc110ef
	;; [unrolled: 1-line block ×3, first 2 shown]
	v_fma_f64 v[32:33], v[28:29], v[32:33], s[4:5]
	s_mov_b32 s63, 0x3fc3b13b
	s_mov_b32 s70, 0x71bf3c30
	v_fma_f64 v[32:33], v[28:29], v[32:33], s[62:63]
	s_mov_b32 s71, 0x3fc745d1
	s_mov_b32 s74, 0x1c7792ce
	;; [unrolled: 3-line block ×4, first 2 shown]
	v_fma_f64 v[32:33], v[28:29], v[32:33], s[78:79]
	s_mov_b32 s67, 0x3fd99999
	v_mul_f64 v[30:31], v[18:19], v[28:29]
	v_fma_f64 v[32:33], v[28:29], v[32:33], s[66:67]
	v_fma_f64 v[26:27], v[28:29], v[18:19], -v[30:31]
	v_mul_f64 v[34:35], v[28:29], v[32:33]
	v_fmac_f64_e32 v[26:27], v[28:29], v[24:25]
	v_fma_f64 v[28:29], v[28:29], v[32:33], -v[34:35]
	v_fmac_f64_e32 v[28:29], v[22:23], v[32:33]
	v_fmac_f64_e32 v[26:27], v[22:23], v[18:19]
	v_add_f64 v[22:23], v[34:35], v[28:29]
	v_add_f64 v[32:33], v[22:23], s[46:47]
	v_add_f64 v[34:35], v[22:23], -v[34:35]
	s_mov_b32 s64, 0xd5df274d
	s_mov_b32 s57, 0xbfe55555
	s_mov_b32 s56, s46
	v_add_f64 v[28:29], v[28:29], -v[34:35]
	s_mov_b32 s65, 0x3c8543b0
	v_add_f64 v[34:35], v[32:33], s[56:57]
	v_add_f64 v[28:29], v[28:29], s[64:65]
	v_add_f64 v[22:23], v[22:23], -v[34:35]
	v_ldexp_f64 v[20:21], v[18:19], 1
	v_add_f64 v[18:19], v[30:31], v[26:27]
	v_add_f64 v[22:23], v[28:29], v[22:23]
	;; [unrolled: 1-line block ×3, first 2 shown]
	v_add_f64 v[30:31], v[18:19], -v[30:31]
	v_mul_f64 v[34:35], v[18:19], v[28:29]
	v_add_f64 v[26:27], v[26:27], -v[30:31]
	v_add_f64 v[30:31], v[32:33], -v[28:29]
	v_add_f64 v[22:23], v[22:23], v[30:31]
	v_fma_f64 v[30:31], v[18:19], v[28:29], -v[34:35]
	v_fmac_f64_e32 v[30:31], v[18:19], v[22:23]
	v_fmac_f64_e32 v[30:31], v[26:27], v[28:29]
	s_mov_b32 s48, 0xfefa39ef
	v_add_f64 v[18:19], v[34:35], v[30:31]
	v_cvt_f64_i32_e32 v[14:15], v6
	s_mov_b32 s49, 0x3fe62e42
	v_add_f64 v[22:23], v[20:21], v[18:19]
	v_add_f64 v[26:27], v[18:19], -v[34:35]
	v_mul_f64 v[10:11], v[14:15], s[48:49]
	s_mov_b32 s52, 0x3b39803f
	v_ldexp_f64 v[24:25], v[24:25], 1
	v_add_f64 v[26:27], v[30:31], -v[26:27]
	v_add_f64 v[20:21], v[22:23], -v[20:21]
	v_fma_f64 v[12:13], v[14:15], s[48:49], -v[10:11]
	s_mov_b32 s53, 0x3c7abc9e
	v_add_f64 v[24:25], v[24:25], v[26:27]
	v_add_f64 v[18:19], v[18:19], -v[20:21]
	v_fmac_f64_e32 v[12:13], s[52:53], v[14:15]
	v_add_f64 v[18:19], v[24:25], v[18:19]
	v_add_f64 v[14:15], v[10:11], v[12:13]
	;; [unrolled: 1-line block ×4, first 2 shown]
	v_add_f64 v[10:11], v[14:15], -v[10:11]
	v_add_f64 v[10:11], v[12:13], -v[10:11]
	;; [unrolled: 1-line block ×7, first 2 shown]
	v_add_f64 v[18:19], v[10:11], v[12:13]
	v_add_f64 v[14:15], v[14:15], -v[22:23]
	v_add_f64 v[14:15], v[20:21], v[14:15]
	v_add_f64 v[22:23], v[18:19], -v[10:11]
	;; [unrolled: 2-line block ×4, first 2 shown]
	v_add_f64 v[10:11], v[10:11], -v[18:19]
	v_add_f64 v[10:11], v[12:13], v[10:11]
	v_add_f64 v[12:13], v[20:21], -v[24:25]
	v_add_f64 v[12:13], v[14:15], -v[12:13]
	v_add_f64 v[10:11], v[10:11], v[12:13]
	v_add_f64 v[12:13], v[20:21], v[10:11]
	v_mul_f64 v[18:19], v[8:9], v[12:13]
	v_add_f64 v[14:15], v[12:13], -v[20:21]
	v_add_f64 v[10:11], v[10:11], -v[14:15]
	v_fma_f64 v[12:13], v[8:9], v[12:13], -v[18:19]
	v_fmac_f64_e32 v[12:13], v[8:9], v[10:11]
	v_add_f64 v[10:11], v[18:19], v[12:13]
	v_cmp_class_f64_e64 s[4:5], v[18:19], s60
	v_cndmask_b32_e64 v21, v11, v19, s[4:5]
	v_cndmask_b32_e64 v20, v10, v18, s[4:5]
	s_mov_b32 s4, 0x652b82fe
	s_mov_b32 s5, 0x3ff71547
	v_mul_f64 v[8:9], v[20:21], s[4:5]
	v_rndne_f64_e32 v[14:15], v[8:9]
	s_mov_b32 s69, 0xbfe62e42
	s_mov_b32 s68, s48
	;; [unrolled: 1-line block ×3, first 2 shown]
	v_fma_f64 v[22:23], s[68:69], v[14:15], v[20:21]
	s_mov_b32 s73, 0xbc7abc9e
	s_mov_b32 s72, s52
	;; [unrolled: 1-line block ×4, first 2 shown]
	v_fmac_f64_e32 v[22:23], s[72:73], v[14:15]
	s_mov_b32 s77, 0x3e5ade15
	v_pk_mov_b32 v[8:9], s[4:5], s[4:5] op_sel:[0,1]
	s_mov_b32 s80, 0x623fde64
	v_fma_f64 v[24:25], s[76:77], v[22:23], v[8:9]
	s_mov_b32 s81, 0x3ec71dee
	s_mov_b32 s82, 0x7c89e6b0
	v_fma_f64 v[24:25], v[22:23], v[24:25], s[80:81]
	s_mov_b32 s83, 0x3efa0199
	;; [unrolled: 3-line block ×8, first 2 shown]
	v_fma_f64 v[24:25], v[22:23], v[24:25], s[58:59]
	v_fma_f64 v[24:25], v[22:23], v[24:25], 1.0
	v_fma_f64 v[22:23], v[22:23], v[24:25], 1.0
	v_cvt_i32_f64_e32 v6, v[14:15]
	v_ldexp_f64 v[22:23], v[22:23], v6
	s_mov_b32 s54, 0
	s_mov_b32 s94, 0
	v_and_b32_e32 v15, 0x7fffffff, v23
	v_mov_b32_e32 v14, v22
	s_mov_b32 s55, 0x40900000
	s_mov_b32 s95, 0x7ff00000
	v_cmp_lt_f64_e64 s[4:5], s[54:55], v[20:21]
	v_cmp_eq_f64_e64 s[6:7], s[94:95], v[14:15]
	v_mov_b32_e32 v15, 0x7ff00000
	v_add_f64 v[10:11], v[10:11], -v[18:19]
	s_mov_b32 s50, 0
	v_cndmask_b32_e64 v6, v22, 0, s[4:5]
	s_or_b64 s[6:7], s[4:5], s[6:7]
	v_cndmask_b32_e64 v14, v23, v15, s[4:5]
	v_add_f64 v[10:11], v[12:13], -v[10:11]
	v_cmp_neq_f64_e64 s[4:5], |v[20:21]|, s[94:95]
	s_mov_b32 s51, 0xc090cc00
	v_cndmask_b32_e64 v11, 0, v11, s[4:5]
	v_cndmask_b32_e64 v10, 0, v10, s[4:5]
	v_cmp_ngt_f64_e64 s[4:5], s[50:51], v[20:21]
	v_cndmask_b32_e64 v13, 0, v14, s[4:5]
	v_cndmask_b32_e64 v12, 0, v6, s[4:5]
	v_pk_mov_b32 v[18:19], v[12:13], v[12:13] op_sel:[0,1]
	v_fmac_f64_e32 v[18:19], v[18:19], v[10:11]
	s_and_b64 s[4:5], s[4:5], s[6:7]
	v_cndmask_b32_e64 v6, v18, v12, s[4:5]
	v_cndmask_b32_e64 v10, v19, v13, s[4:5]
	;; [unrolled: 1-line block ×4, first 2 shown]
	v_mov_b32_e32 v12, s35
	s_brev_b32 s61, -2
	v_bfi_b32 v11, s61, v12, v11
	v_bfi_b32 v7, s61, v10, v7
	v_cndmask_b32_e64 v6, v6, 0, vcc
	v_cndmask_b32_e32 v7, v7, v11, vcc
	v_add_f64 v[6:7], -v[6:7], 1.0
	v_cvt_f32_f64_e32 v6, v[6:7]
	s_mov_b32 s35, 0xf800000
	v_mul_f32_e32 v7, 0x4f800000, v6
	v_cmp_gt_f32_e32 vcc, s35, v6
	v_cndmask_b32_e32 v18, v6, v7, vcc
	v_sqrt_f32_e32 v6, v18
	s_mul_i32 s12, s33, s12
	v_mov_b32_e32 v14, 0x260
	v_add_u32_e32 v7, -1, v6
	v_fma_f32 v10, -v7, v6, v18
	v_cmp_ge_f32_e64 s[2:3], 0, v10
	v_add_u32_e32 v10, 1, v6
	v_cndmask_b32_e64 v7, v6, v7, s[2:3]
	v_fma_f32 v6, -v10, v6, v18
	v_cmp_lt_f32_e64 s[2:3], 0, v6
	v_cndmask_b32_e64 v6, v7, v10, s[2:3]
	v_mul_f32_e32 v7, 0x37800000, v6
	v_cndmask_b32_e32 v19, v6, v7, vcc
	v_cmp_neq_f32_e64 vcc, s9, 1.0
	v_cndmask_b32_e32 v7, v17, v3, vcc
	v_cndmask_b32_e32 v6, 0, v2, vcc
	v_cvt_f64_f32_e32 v[2:3], s9
	v_cmp_neq_f64_e32 vcc, 0, v[6:7]
	v_cndmask_b32_e32 v3, v17, v3, vcc
	v_cndmask_b32_e32 v2, 0, v2, vcc
	v_cmp_class_f64_e64 s[4:5], v[2:3], s60
	v_cmp_eq_f64_e64 s[2:3], 0, v[2:3]
	s_or_b64 vcc, s[4:5], s[2:3]
	v_mul_f64 v[12:13], v[6:7], 0.5
	s_and_b64 s[2:3], s[2:3], exec
	v_trunc_f64_e32 v[10:11], v[6:7]
	v_trunc_f64_e32 v[20:21], v[12:13]
	v_cmp_eq_f64_e64 s[2:3], v[10:11], v[6:7]
	v_cmp_neq_f64_e64 s[4:5], v[20:21], v[12:13]
	v_frexp_mant_f64_e64 v[10:11], |v[2:3]|
	s_cselect_b32 s33, 0, 0x7ff00000
	s_and_b64 s[2:3], s[2:3], s[4:5]
	v_frexp_exp_i32_f64_e32 v12, v[2:3]
	v_cmp_gt_f64_e64 s[4:5], s[46:47], v[10:11]
	v_subbrev_co_u32_e64 v2, s[6:7], 0, v12, s[4:5]
	s_and_b64 s[4:5], s[4:5], exec
	s_cselect_b32 s5, 2.0, 0x3ff00000
	s_mov_b32 s4, s13
	v_mul_f64 v[12:13], v[10:11], s[4:5]
	v_add_f64 v[22:23], v[12:13], 1.0
	v_rcp_f64_e32 v[24:25], v[22:23]
	v_cvt_f64_i32_e32 v[20:21], v2
	v_mul_f64 v[10:11], v[20:21], s[48:49]
	v_fma_f64 v[26:27], v[20:21], s[48:49], -v[10:11]
	v_fma_f64 v[28:29], -v[22:23], v[24:25], 1.0
	v_fmac_f64_e32 v[24:25], v[28:29], v[24:25]
	v_fma_f64 v[28:29], -v[22:23], v[24:25], 1.0
	v_fmac_f64_e32 v[26:27], s[52:53], v[20:21]
	v_add_f64 v[20:21], v[12:13], -1.0
	v_fmac_f64_e32 v[24:25], v[28:29], v[24:25]
	v_mul_f64 v[28:29], v[20:21], v[24:25]
	v_mul_f64 v[30:31], v[22:23], v[28:29]
	v_add_f64 v[32:33], v[22:23], -1.0
	v_add_f64 v[12:13], v[12:13], -v[32:33]
	v_fma_f64 v[22:23], v[28:29], v[22:23], -v[30:31]
	v_fmac_f64_e32 v[22:23], v[28:29], v[12:13]
	v_add_f64 v[12:13], v[30:31], v[22:23]
	v_add_f64 v[32:33], v[20:21], -v[12:13]
	v_add_f64 v[30:31], v[12:13], -v[30:31]
	;; [unrolled: 1-line block ×5, first 2 shown]
	v_add_f64 v[12:13], v[22:23], v[12:13]
	v_add_f64 v[12:13], v[32:33], v[12:13]
	v_mul_f64 v[12:13], v[24:25], v[12:13]
	v_add_f64 v[20:21], v[28:29], v[12:13]
	v_add_f64 v[24:25], v[20:21], -v[28:29]
	v_mul_f64 v[22:23], v[20:21], v[20:21]
	v_add_f64 v[24:25], v[12:13], -v[24:25]
	v_add_f64 v[12:13], v[24:25], v[24:25]
	v_fma_f64 v[28:29], v[20:21], v[20:21], -v[22:23]
	v_fmac_f64_e32 v[28:29], v[20:21], v[12:13]
	s_mov_b32 s4, 0x4222de17
	v_add_f64 v[30:31], v[22:23], v[28:29]
	s_mov_b32 s5, 0x3fbdee67
	v_fmac_f64_e32 v[4:5], s[4:5], v[30:31]
	s_mov_b32 s4, 0x3abe935a
	s_mov_b32 s5, 0x3fbe25e4
	v_fma_f64 v[4:5], v[30:31], v[4:5], s[4:5]
	s_mov_b32 s4, 0x47e6c9c2
	s_mov_b32 s5, 0x3fc110ef
	v_fma_f64 v[4:5], v[30:31], v[4:5], s[4:5]
	v_fma_f64 v[4:5], v[30:31], v[4:5], s[62:63]
	;; [unrolled: 1-line block ×6, first 2 shown]
	v_add_f64 v[12:13], v[30:31], -v[22:23]
	v_add_f64 v[22:23], v[28:29], -v[12:13]
	v_mul_f64 v[28:29], v[30:31], v[4:5]
	v_fma_f64 v[32:33], v[30:31], v[4:5], -v[28:29]
	v_fmac_f64_e32 v[32:33], v[22:23], v[4:5]
	v_mul_f64 v[38:39], v[20:21], v[30:31]
	v_add_f64 v[4:5], v[28:29], v[32:33]
	v_fma_f64 v[40:41], v[30:31], v[20:21], -v[38:39]
	v_add_f64 v[34:35], v[4:5], s[46:47]
	v_add_f64 v[28:29], v[4:5], -v[28:29]
	v_fmac_f64_e32 v[40:41], v[30:31], v[24:25]
	v_add_f64 v[28:29], v[32:33], -v[28:29]
	v_fmac_f64_e32 v[40:41], v[22:23], v[20:21]
	v_add_f64 v[22:23], v[34:35], s[56:57]
	v_add_f64 v[28:29], v[28:29], s[64:65]
	v_add_f64 v[4:5], v[4:5], -v[22:23]
	v_add_f64 v[4:5], v[28:29], v[4:5]
	v_ldexp_f64 v[36:37], v[20:21], 1
	v_add_f64 v[20:21], v[38:39], v[40:41]
	v_add_f64 v[22:23], v[34:35], v[4:5]
	v_mul_f64 v[28:29], v[20:21], v[22:23]
	v_add_f64 v[34:35], v[34:35], -v[22:23]
	v_add_f64 v[30:31], v[20:21], -v[38:39]
	v_add_f64 v[4:5], v[4:5], v[34:35]
	v_fma_f64 v[34:35], v[20:21], v[22:23], -v[28:29]
	v_add_f64 v[30:31], v[40:41], -v[30:31]
	v_fmac_f64_e32 v[34:35], v[20:21], v[4:5]
	v_fmac_f64_e32 v[34:35], v[30:31], v[22:23]
	v_add_f64 v[4:5], v[28:29], v[34:35]
	v_ldexp_f64 v[22:23], v[24:25], 1
	v_add_f64 v[24:25], v[4:5], -v[28:29]
	v_add_f64 v[20:21], v[36:37], v[4:5]
	v_add_f64 v[24:25], v[34:35], -v[24:25]
	v_add_f64 v[22:23], v[22:23], v[24:25]
	v_add_f64 v[24:25], v[20:21], -v[36:37]
	v_add_f64 v[4:5], v[4:5], -v[24:25]
	v_mov_b32_e32 v2, s33
	v_cndmask_b32_e64 v32, 0, v3, s[2:3]
	v_add_f64 v[4:5], v[22:23], v[4:5]
	v_bfi_b32 v42, s61, v2, v32
	v_add_f64 v[32:33], v[10:11], v[26:27]
	v_add_f64 v[22:23], v[20:21], v[4:5]
	;; [unrolled: 1-line block ×3, first 2 shown]
	v_add_f64 v[10:11], v[32:33], -v[10:11]
	v_add_f64 v[10:11], v[26:27], -v[10:11]
	;; [unrolled: 1-line block ×7, first 2 shown]
	v_add_f64 v[20:21], v[10:11], v[4:5]
	v_add_f64 v[26:27], v[32:33], -v[26:27]
	v_add_f64 v[22:23], v[22:23], v[26:27]
	v_add_f64 v[28:29], v[20:21], -v[10:11]
	;; [unrolled: 2-line block ×4, first 2 shown]
	v_add_f64 v[10:11], v[10:11], -v[20:21]
	v_add_f64 v[4:5], v[4:5], v[10:11]
	v_add_f64 v[10:11], v[26:27], -v[24:25]
	v_add_f64 v[10:11], v[22:23], -v[10:11]
	v_add_f64 v[4:5], v[4:5], v[10:11]
	v_add_f64 v[10:11], v[26:27], v[4:5]
	v_mul_f64 v[20:21], v[6:7], v[10:11]
	v_add_f64 v[22:23], v[10:11], -v[26:27]
	v_add_f64 v[4:5], v[4:5], -v[22:23]
	v_fma_f64 v[10:11], v[6:7], v[10:11], -v[20:21]
	v_fmac_f64_e32 v[10:11], v[6:7], v[4:5]
	v_add_f64 v[4:5], v[20:21], v[10:11]
	v_cmp_class_f64_e64 s[4:5], v[20:21], s60
	v_cndmask_b32_e64 v7, v5, v21, s[4:5]
	v_cndmask_b32_e64 v6, v4, v20, s[4:5]
	s_mov_b32 s4, 0x652b82fe
	s_mov_b32 s5, 0x3ff71547
	v_mul_f64 v[22:23], v[6:7], s[4:5]
	v_rndne_f64_e32 v[22:23], v[22:23]
	v_fma_f64 v[24:25], s[68:69], v[22:23], v[6:7]
	v_fmac_f64_e32 v[24:25], s[72:73], v[22:23]
	v_fmac_f64_e32 v[8:9], s[76:77], v[24:25]
	v_fma_f64 v[8:9], v[24:25], v[8:9], s[80:81]
	v_fma_f64 v[8:9], v[24:25], v[8:9], s[82:83]
	;; [unrolled: 1-line block ×8, first 2 shown]
	v_fma_f64 v[8:9], v[24:25], v[8:9], 1.0
	v_fma_f64 v[8:9], v[24:25], v[8:9], 1.0
	v_cvt_i32_f64_e32 v2, v[22:23]
	v_ldexp_f64 v[8:9], v[8:9], v2
	v_and_b32_e32 v23, 0x7fffffff, v9
	v_mov_b32_e32 v22, v8
	v_cmp_eq_f64_e64 s[4:5], s[94:95], v[22:23]
	v_cmp_lt_f64_e64 s[6:7], s[54:55], v[6:7]
	v_cndmask_b32_e64 v2, v8, 0, s[6:7]
	s_or_b64 s[52:53], s[6:7], s[4:5]
	v_cndmask_b32_e64 v8, v9, v15, s[6:7]
	v_cmp_ngt_f64_e64 s[4:5], s[50:51], v[6:7]
	v_add_f64 v[4:5], v[4:5], -v[20:21]
	v_cndmask_b32_e64 v9, 0, v8, s[4:5]
	v_cndmask_b32_e64 v8, 0, v2, s[4:5]
	v_add_f64 v[4:5], v[10:11], -v[4:5]
	v_cmp_neq_f64_e64 s[6:7], |v[6:7]|, s[94:95]
	v_cndmask_b32_e64 v5, 0, v5, s[6:7]
	v_cndmask_b32_e64 v4, 0, v4, s[6:7]
	v_pk_mov_b32 v[6:7], v[8:9], v[8:9] op_sel:[0,1]
	v_fmac_f64_e32 v[6:7], v[6:7], v[4:5]
	s_and_b64 s[4:5], s[4:5], s[52:53]
	v_cndmask_b32_e64 v4, v7, v9, s[4:5]
	v_cndmask_b32_e64 v3, v17, v3, s[2:3]
	v_cndmask_b32_e64 v2, v6, v8, s[4:5]
	v_bfi_b32 v3, s61, v4, v3
	v_cndmask_b32_e64 v2, v2, 0, vcc
	v_cndmask_b32_e32 v3, v3, v42, vcc
	v_add_f64 v[2:3], -v[2:3], 1.0
	v_cvt_f32_f64_e32 v2, v[2:3]
	v_div_scale_f32 v3, s[2:3], v2, v2, s8
	v_rcp_f32_e32 v4, v3
	v_cmp_class_f32_e32 vcc, v18, v14
	v_cndmask_b32_e32 v8, v19, v18, vcc
	v_mov_b32_e32 v12, s11
	v_fma_f32 v5, -v3, v4, 1.0
	v_fmac_f32_e32 v4, v5, v4
	v_div_scale_f32 v5, vcc, s8, v2, s8
	v_mul_f32_e32 v6, v5, v4
	v_fma_f32 v7, -v3, v6, v5
	v_fmac_f32_e32 v6, v7, v4
	v_fma_f32 v3, -v3, v6, v5
	v_div_fmas_f32 v3, v3, v4, v6
	v_lshlrev_b64 v[4:5], 1, v[0:1]
	s_cmp_lg_u64 s[20:21], 0
	v_mov_b32_e32 v6, s21
	v_add_co_u32_e32 v4, vcc, s20, v4
	v_cmp_neq_f32_e64 s[46:47], s11, 0
	v_mul_f32_e32 v12, s8, v12
	v_sub_f32_e64 v13, 1.0, s10
	s_mov_b64 s[48:49], 0
	v_sub_f32_e64 v9, 1.0, s9
	v_div_fixup_f32 v10, v3, v2, s8
	s_cselect_b64 s[4:5], -1, 0
	v_lshlrev_b64 v[2:3], 2, v[0:1]
	s_lshl_b64 s[6:7], s[12:13], 2
	v_addc_co_u32_e32 v5, vcc, v6, v5, vcc
	s_lshl_b64 s[20:21], s[12:13], 1
	s_branch .LBB1_23
.LBB1_22:                               ;   in Loop: Header=BB1_23 Depth=1
	s_add_u32 s22, s22, s6
	s_addc_u32 s23, s23, s7
	s_add_u32 s16, s16, s6
	s_addc_u32 s17, s17, s7
	s_add_u32 s24, s24, s6
	s_addc_u32 s25, s25, s7
	s_add_u32 s28, s28, s6
	s_addc_u32 s29, s29, s7
	s_add_u32 s36, s36, s6
	s_addc_u32 s37, s37, s7
	s_add_u32 s38, s38, s6
	s_addc_u32 s39, s39, s7
	s_add_u32 s18, s18, s6
	s_addc_u32 s19, s19, s7
	s_add_u32 s26, s26, s6
	v_mov_b32_e32 v6, s13
	v_add_co_u32_e32 v0, vcc, s12, v0
	s_addc_u32 s27, s27, s7
	v_addc_co_u32_e32 v1, vcc, v1, v6, vcc
	s_add_u32 s30, s30, s6
	s_addc_u32 s31, s31, s7
	v_cmp_le_u64_e32 vcc, s[14:15], v[0:1]
	v_mov_b32_e32 v6, s21
	s_or_b64 s[48:49], vcc, s[48:49]
	v_add_co_u32_e32 v4, vcc, s20, v4
	v_addc_co_u32_e32 v5, vcc, v5, v6, vcc
	s_andn2_b64 exec, exec, s[48:49]
	s_cbranch_execz .LBB1_34
.LBB1_23:                               ; =>This Inner Loop Header: Depth=1
	v_mov_b32_e32 v7, s23
	v_add_co_u32_e32 v6, vcc, s22, v2
	v_addc_co_u32_e32 v7, vcc, v7, v3, vcc
	global_load_dword v11, v[6:7], off
	v_mov_b32_e32 v7, s17
	v_add_co_u32_e32 v6, vcc, s16, v2
	v_addc_co_u32_e32 v7, vcc, v7, v3, vcc
	global_load_dword v6, v[6:7], off
	;; [unrolled: 4-line block ×4, first 2 shown]
	s_waitcnt vmcnt(3)
	v_div_scale_f32 v15, s[2:3], v16, v16, v11
	v_rcp_f32_e32 v18, v15
	v_div_scale_f32 v19, vcc, v11, v16, v11
	v_fma_f32 v20, -v15, v18, 1.0
	v_fmac_f32_e32 v18, v20, v18
	v_mul_f32_e32 v20, v19, v18
	v_fma_f32 v21, -v15, v20, v19
	v_fmac_f32_e32 v20, v21, v18
	v_fma_f32 v15, -v15, v20, v19
	v_div_fmas_f32 v15, v15, v18, v20
	v_div_fixup_f32 v15, v15, v16, v11
	v_cndmask_b32_e64 v11, v15, v11, s[0:1]
	s_andn2_b64 vcc, exec, s[46:47]
	v_cndmask_b32_e64 v15, v11, -v11, s[40:41]
	s_cbranch_vccnz .LBB1_29
; %bb.24:                               ;   in Loop: Header=BB1_23 Depth=1
	s_and_b64 vcc, exec, s[42:43]
	s_cbranch_vccz .LBB1_26
; %bb.25:                               ;   in Loop: Header=BB1_23 Depth=1
	s_waitcnt vmcnt(2)
	v_fma_f32 v11, s11, v6, v15
	s_cbranch_execz .LBB1_27
	s_branch .LBB1_28
.LBB1_26:                               ;   in Loop: Header=BB1_23 Depth=1
                                        ; implicit-def: $vgpr11
.LBB1_27:                               ;   in Loop: Header=BB1_23 Depth=1
	s_waitcnt vmcnt(2)
	v_fma_f32 v6, -v12, v6, v6
	v_mov_b32_e32 v11, v15
.LBB1_28:                               ;   in Loop: Header=BB1_23 Depth=1
	v_mov_b32_e32 v15, v11
.LBB1_29:                               ;   in Loop: Header=BB1_23 Depth=1
	v_mul_f32_e32 v11, v15, v15
	v_mul_f32_e32 v11, v13, v11
	s_waitcnt vmcnt(0)
	v_fmac_f32_e32 v11, s10, v17
	s_andn2_b64 vcc, exec, s[44:45]
	v_mov_b32_e32 v17, v11
	s_cbranch_vccnz .LBB1_31
; %bb.30:                               ;   in Loop: Header=BB1_23 Depth=1
	v_mov_b32_e32 v17, s37
	v_add_co_u32_e32 v18, vcc, s36, v2
	v_addc_co_u32_e32 v19, vcc, v17, v3, vcc
	global_load_dword v17, v[18:19], off
	v_max_f32_e32 v18, v11, v11
	v_mov_b32_e32 v19, s39
	s_waitcnt vmcnt(0)
	v_max_f32_e32 v17, v17, v17
	v_max_f32_e32 v17, v17, v18
	v_add_co_u32_e32 v18, vcc, s38, v2
	v_addc_co_u32_e32 v19, vcc, v19, v3, vcc
	global_store_dword v[18:19], v17, off
.LBB1_31:                               ;   in Loop: Header=BB1_23 Depth=1
	v_mul_f32_e32 v18, 0x4f800000, v17
	v_cmp_gt_f32_e32 vcc, s35, v17
	v_cndmask_b32_e32 v17, v17, v18, vcc
	v_sqrt_f32_e32 v18, v17
	v_add_u32_e32 v19, -1, v18
	v_fma_f32 v21, -v19, v18, v17
	v_add_u32_e32 v20, 1, v18
	v_cmp_ge_f32_e64 s[2:3], 0, v21
	v_cndmask_b32_e64 v19, v18, v19, s[2:3]
	v_fma_f32 v18, -v20, v18, v17
	v_cmp_lt_f32_e64 s[2:3], 0, v18
	v_cndmask_b32_e64 v18, v19, v20, s[2:3]
	v_mul_f32_e32 v19, 0x37800000, v18
	v_cndmask_b32_e32 v18, v18, v19, vcc
	v_cmp_class_f32_e32 vcc, v17, v14
	v_cndmask_b32_e32 v17, v18, v17, vcc
	v_div_scale_f32 v18, s[2:3], v8, v8, v17
	v_rcp_f32_e32 v19, v18
	v_fma_f32 v20, -v18, v19, 1.0
	v_fmac_f32_e32 v19, v20, v19
	v_div_scale_f32 v20, vcc, v17, v8, v17
	v_mul_f32_e32 v21, v20, v19
	v_fma_f32 v22, -v18, v21, v20
	v_fmac_f32_e32 v21, v22, v19
	v_fma_f32 v18, -v18, v21, v20
	v_div_fmas_f32 v18, v18, v19, v21
	v_div_fixup_f32 v19, v18, v8, v17
	v_mul_f32_e32 v18, s9, v7
	v_mul_f32_e32 v20, v9, v15
	v_mov_b32_e32 v21, s34
	v_pk_add_f32 v[18:19], v[18:19], v[20:21]
	v_mul_f32_e32 v7, v10, v18
	v_div_scale_f32 v15, s[2:3], v19, v19, v7
	v_rcp_f32_e32 v17, v15
	v_fma_f32 v20, -v15, v17, 1.0
	v_fmac_f32_e32 v17, v20, v17
	v_div_scale_f32 v20, vcc, v7, v19, v7
	v_mul_f32_e32 v21, v20, v17
	v_fma_f32 v22, -v15, v21, v20
	v_fmac_f32_e32 v21, v22, v17
	v_fma_f32 v15, -v15, v21, v20
	v_div_fmas_f32 v15, v15, v17, v21
	v_div_fixup_f32 v7, v15, v19, v7
	v_sub_f32_e32 v15, v6, v7
	v_mov_b32_e32 v7, s19
	v_add_co_u32_e32 v6, vcc, s18, v2
	v_addc_co_u32_e32 v7, vcc, v7, v3, vcc
	global_store_dword v[6:7], v15, off
	v_mov_b32_e32 v15, s27
	v_add_co_u32_e32 v20, vcc, s26, v2
	v_addc_co_u32_e32 v21, vcc, v15, v3, vcc
	global_store_dword v[20:21], v18, off
	v_mov_b32_e32 v15, s31
	v_add_co_u32_e32 v18, vcc, s30, v2
	v_addc_co_u32_e32 v19, vcc, v15, v3, vcc
	s_andn2_b64 vcc, exec, s[4:5]
	global_store_dword v[18:19], v11, off
	s_cbranch_vccnz .LBB1_22
; %bb.32:                               ;   in Loop: Header=BB1_23 Depth=1
	global_load_dword v6, v[6:7], off
	s_waitcnt vmcnt(0)
	v_cvt_f16_f32_e32 v6, v6
	global_store_short v[4:5], v6, off
	s_branch .LBB1_22
.LBB1_33:
	s_cbranch_execnz .LBB1_18
.LBB1_34:
	s_endpgm
	.section	.rodata,"a",@progbits
	.p2align	6, 0x0
	.amdhsa_kernel AmpAdamContiguousWithStep
		.amdhsa_group_segment_fixed_size 0
		.amdhsa_private_segment_fixed_size 0
		.amdhsa_kernarg_size 392
		.amdhsa_user_sgpr_count 6
		.amdhsa_user_sgpr_private_segment_buffer 1
		.amdhsa_user_sgpr_dispatch_ptr 0
		.amdhsa_user_sgpr_queue_ptr 0
		.amdhsa_user_sgpr_kernarg_segment_ptr 1
		.amdhsa_user_sgpr_dispatch_id 0
		.amdhsa_user_sgpr_flat_scratch_init 0
		.amdhsa_user_sgpr_kernarg_preload_length 0
		.amdhsa_user_sgpr_kernarg_preload_offset 0
		.amdhsa_user_sgpr_private_segment_size 0
		.amdhsa_uses_dynamic_stack 0
		.amdhsa_system_sgpr_private_segment_wavefront_offset 0
		.amdhsa_system_sgpr_workgroup_id_x 1
		.amdhsa_system_sgpr_workgroup_id_y 0
		.amdhsa_system_sgpr_workgroup_id_z 0
		.amdhsa_system_sgpr_workgroup_info 0
		.amdhsa_system_vgpr_workitem_id 0
		.amdhsa_next_free_vgpr 43
		.amdhsa_next_free_sgpr 96
		.amdhsa_accum_offset 44
		.amdhsa_reserve_vcc 1
		.amdhsa_reserve_flat_scratch 0
		.amdhsa_float_round_mode_32 0
		.amdhsa_float_round_mode_16_64 0
		.amdhsa_float_denorm_mode_32 3
		.amdhsa_float_denorm_mode_16_64 3
		.amdhsa_dx10_clamp 1
		.amdhsa_ieee_mode 1
		.amdhsa_fp16_overflow 0
		.amdhsa_tg_split 0
		.amdhsa_exception_fp_ieee_invalid_op 0
		.amdhsa_exception_fp_denorm_src 0
		.amdhsa_exception_fp_ieee_div_zero 0
		.amdhsa_exception_fp_ieee_overflow 0
		.amdhsa_exception_fp_ieee_underflow 0
		.amdhsa_exception_fp_ieee_inexact 0
		.amdhsa_exception_int_div_zero 0
	.end_amdhsa_kernel
	.text
.Lfunc_end1:
	.size	AmpAdamContiguousWithStep, .Lfunc_end1-AmpAdamContiguousWithStep
                                        ; -- End function
	.section	.AMDGPU.csdata,"",@progbits
; Kernel info:
; codeLenInByte = 5224
; NumSgprs: 100
; NumVgprs: 43
; NumAgprs: 0
; TotalNumVgprs: 43
; ScratchSize: 0
; MemoryBound: 0
; FloatMode: 240
; IeeeMode: 1
; LDSByteSize: 0 bytes/workgroup (compile time only)
; SGPRBlocks: 12
; VGPRBlocks: 5
; NumSGPRsForWavesPerEU: 100
; NumVGPRsForWavesPerEU: 43
; AccumOffset: 44
; Occupancy: 8
; WaveLimiterHint : 0
; COMPUTE_PGM_RSRC2:SCRATCH_EN: 0
; COMPUTE_PGM_RSRC2:USER_SGPR: 6
; COMPUTE_PGM_RSRC2:TRAP_HANDLER: 0
; COMPUTE_PGM_RSRC2:TGID_X_EN: 1
; COMPUTE_PGM_RSRC2:TGID_Y_EN: 0
; COMPUTE_PGM_RSRC2:TGID_Z_EN: 0
; COMPUTE_PGM_RSRC2:TIDIG_COMP_CNT: 0
; COMPUTE_PGM_RSRC3_GFX90A:ACCUM_OFFSET: 10
; COMPUTE_PGM_RSRC3_GFX90A:TG_SPLIT: 0
	.text
	.protected	AmpAdamContiguous       ; -- Begin function AmpAdamContiguous
	.globl	AmpAdamContiguous
	.p2align	8
	.type	AmpAdamContiguous,@function
AmpAdamContiguous:                      ; @AmpAdamContiguous
; %bb.0:
	s_load_dword s0, s[4:5], 0x94
	s_load_dwordx2 s[14:15], s[4:5], 0x80
	s_add_u32 s48, s4, 0x88
	s_addc_u32 s49, s5, 0
	v_mov_b32_e32 v3, 0
	s_waitcnt lgkmcnt(0)
	s_and_b32 s0, s0, 0xffff
	s_mul_i32 s0, s6, s0
	v_add_u32_e32 v2, s0, v0
	v_cmp_gt_u64_e32 vcc, s[14:15], v[2:3]
	s_and_saveexec_b64 s[0:1], vcc
	s_cbranch_execz .LBB2_34
; %bb.1:
	s_load_dwordx4 s[44:47], s[4:5], 0x70
	s_load_dwordx8 s[36:43], s[4:5], 0x40
	s_load_dwordx16 s[16:31], s[4:5], 0x0
	s_load_dword s7, s[48:49], 0x0
	s_waitcnt lgkmcnt(0)
	s_bitcmp1_b32 s46, 0
	s_cselect_b64 s[34:35], -1, 0
	s_cmp_eq_u64 s[42:43], 0
	s_cselect_b64 s[0:1], -1, 0
	s_and_b64 vcc, exec, s[0:1]
	s_cbranch_vccnz .LBB2_17
; %bb.2:
	v_mov_b32_e32 v3, 0
	global_load_ubyte v1, v3, s[42:43]
	s_waitcnt vmcnt(0)
	v_cmp_ne_u16_e32 vcc, 0, v1
	s_cbranch_vccz .LBB2_33
; %bb.3:
	s_cmp_lt_u32 s6, s7
	s_cselect_b32 s0, 12, 18
	s_add_u32 s0, s48, s0
	s_addc_u32 s1, s49, 0
	global_load_ushort v1, v3, s[0:1]
	s_waitcnt vmcnt(0)
	v_readfirstlane_b32 s0, v1
	v_mul_lo_u32 v1, s6, v1
	v_add_u32_e32 v2, v1, v0
	v_cmp_gt_u64_e32 vcc, s[14:15], v[2:3]
	s_and_saveexec_b64 s[42:43], vcc
	s_cbranch_execz .LBB2_16
; %bb.4:
	s_cmp_lg_u64 s[16:17], s[18:19]
	s_mul_i32 s46, s7, s0
	s_cselect_b64 s[0:1], -1, 0
	s_cmp_lg_u64 s[20:21], 0
	v_lshlrev_b64 v[6:7], 1, v[2:3]
	s_cselect_b64 s[2:3], -1, 0
	s_cmp_lg_u64 s[24:25], s[26:27]
	v_mov_b32_e32 v1, s21
	v_add_co_u32_e32 v6, vcc, s20, v6
	s_cselect_b64 s[8:9], -1, 0
	s_cmp_lg_u64 s[28:29], s[30:31]
	v_addc_co_u32_e32 v7, vcc, v1, v7, vcc
	v_cndmask_b32_e64 v1, 0, 1, s[0:1]
	s_cselect_b64 s[10:11], -1, 0
	s_cmp_lg_u64 s[36:37], s[38:39]
	v_cmp_ne_u32_e64 s[0:1], 1, v1
	v_cndmask_b32_e64 v1, 0, 1, s[2:3]
	s_cselect_b64 s[56:57], -1, 0
	v_cmp_ne_u32_e64 s[2:3], 1, v1
	v_cndmask_b32_e64 v1, 0, 1, s[8:9]
	s_mov_b32 s47, 0
	v_cmp_ne_u32_e64 s[12:13], 1, v1
	v_cndmask_b32_e64 v1, 0, 1, s[10:11]
	s_and_b64 s[10:11], s[56:57], s[34:35]
	s_lshl_b64 s[54:55], s[46:47], 1
	v_cndmask_b32_e64 v9, 0, 1, s[10:11]
	s_mov_b64 s[50:51], 0
	v_lshlrev_b64 v[4:5], 2, v[2:3]
	s_lshl_b64 s[52:53], s[46:47], 2
	v_cmp_ne_u32_e64 s[8:9], 1, v1
	v_mov_b32_e32 v1, s47
	v_mov_b32_e32 v8, s55
	v_cmp_ne_u32_e64 s[10:11], 1, v9
	s_mov_b64 s[56:57], s[38:39]
	s_mov_b64 s[58:59], s[36:37]
	s_mov_b64 s[60:61], s[30:31]
	s_mov_b64 s[62:63], s[28:29]
	s_mov_b64 s[64:65], s[26:27]
	s_mov_b64 s[66:67], s[24:25]
	s_mov_b64 s[68:69], s[18:19]
	s_mov_b64 s[70:71], s[16:17]
	s_branch .LBB2_6
.LBB2_5:                                ;   in Loop: Header=BB2_6 Depth=1
	s_add_u32 s70, s70, s52
	s_addc_u32 s71, s71, s53
	s_add_u32 s68, s68, s52
	s_addc_u32 s69, s69, s53
	;; [unrolled: 2-line block ×6, first 2 shown]
	s_add_u32 s58, s58, s52
	v_add_co_u32_e32 v2, vcc, s46, v2
	s_addc_u32 s59, s59, s53
	v_addc_co_u32_e32 v3, vcc, v3, v1, vcc
	s_add_u32 s56, s56, s52
	s_addc_u32 s57, s57, s53
	v_cmp_le_u64_e32 vcc, s[14:15], v[2:3]
	s_or_b64 s[50:51], vcc, s[50:51]
	v_add_co_u32_e32 v6, vcc, s54, v6
	v_addc_co_u32_e32 v7, vcc, v7, v8, vcc
	s_andn2_b64 exec, exec, s[50:51]
	s_cbranch_execz .LBB2_16
.LBB2_6:                                ; =>This Inner Loop Header: Depth=1
	s_and_b64 vcc, exec, s[0:1]
	s_cbranch_vccnz .LBB2_8
; %bb.7:                                ;   in Loop: Header=BB2_6 Depth=1
	v_mov_b32_e32 v9, s71
	v_add_co_u32_e32 v10, vcc, s70, v4
	v_addc_co_u32_e32 v11, vcc, v9, v5, vcc
	global_load_dword v9, v[10:11], off
	v_mov_b32_e32 v11, s69
	v_add_co_u32_e32 v10, vcc, s68, v4
	v_addc_co_u32_e32 v11, vcc, v11, v5, vcc
	s_waitcnt vmcnt(0)
	global_store_dword v[10:11], v9, off
.LBB2_8:                                ;   in Loop: Header=BB2_6 Depth=1
	s_and_b64 vcc, exec, s[2:3]
	s_cbranch_vccnz .LBB2_10
; %bb.9:                                ;   in Loop: Header=BB2_6 Depth=1
	v_mov_b32_e32 v9, s71
	v_add_co_u32_e32 v10, vcc, s70, v4
	v_addc_co_u32_e32 v11, vcc, v9, v5, vcc
	global_load_dword v9, v[10:11], off
	s_waitcnt vmcnt(0)
	v_cvt_f16_f32_e32 v9, v9
	global_store_short v[6:7], v9, off
.LBB2_10:                               ;   in Loop: Header=BB2_6 Depth=1
	s_and_b64 vcc, exec, s[12:13]
	s_cbranch_vccnz .LBB2_12
; %bb.11:                               ;   in Loop: Header=BB2_6 Depth=1
	v_mov_b32_e32 v9, s67
	v_add_co_u32_e32 v10, vcc, s66, v4
	v_addc_co_u32_e32 v11, vcc, v9, v5, vcc
	global_load_dword v9, v[10:11], off
	v_mov_b32_e32 v11, s65
	v_add_co_u32_e32 v10, vcc, s64, v4
	v_addc_co_u32_e32 v11, vcc, v11, v5, vcc
	s_waitcnt vmcnt(0)
	global_store_dword v[10:11], v9, off
.LBB2_12:                               ;   in Loop: Header=BB2_6 Depth=1
	s_and_b64 vcc, exec, s[8:9]
	s_cbranch_vccnz .LBB2_14
; %bb.13:                               ;   in Loop: Header=BB2_6 Depth=1
	v_mov_b32_e32 v9, s63
	v_add_co_u32_e32 v10, vcc, s62, v4
	v_addc_co_u32_e32 v11, vcc, v9, v5, vcc
	global_load_dword v9, v[10:11], off
	v_mov_b32_e32 v11, s61
	v_add_co_u32_e32 v10, vcc, s60, v4
	v_addc_co_u32_e32 v11, vcc, v11, v5, vcc
	s_waitcnt vmcnt(0)
	global_store_dword v[10:11], v9, off
.LBB2_14:                               ;   in Loop: Header=BB2_6 Depth=1
	s_and_b64 vcc, exec, s[10:11]
	s_cbranch_vccnz .LBB2_5
; %bb.15:                               ;   in Loop: Header=BB2_6 Depth=1
	v_mov_b32_e32 v9, s59
	v_add_co_u32_e32 v10, vcc, s58, v4
	v_addc_co_u32_e32 v11, vcc, v9, v5, vcc
	global_load_dword v9, v[10:11], off
	v_mov_b32_e32 v11, s57
	v_add_co_u32_e32 v10, vcc, s56, v4
	v_addc_co_u32_e32 v11, vcc, v11, v5, vcc
	s_waitcnt vmcnt(0)
	global_store_dword v[10:11], v9, off
	s_branch .LBB2_5
.LBB2_16:
	s_or_b64 exec, exec, s[42:43]
	s_mov_b64 s[0:1], 0
.LBB2_17:
	s_and_b64 vcc, exec, s[0:1]
	s_cbranch_vccz .LBB2_34
.LBB2_18:
	s_cmp_lt_u32 s6, s7
	s_cselect_b32 s0, 12, 18
	s_add_u32 s0, s48, s0
	s_addc_u32 s1, s49, 0
	v_mov_b32_e32 v1, 0
	global_load_ushort v2, v1, s[0:1]
	s_cmp_eq_u64 s[40:41], 0
	s_cselect_b64 s[0:1], -1, 0
	v_mov_b32_e32 v16, 1.0
	s_and_b64 vcc, exec, s[0:1]
	s_waitcnt vmcnt(0)
	v_readfirstlane_b32 s2, v2
	s_cbranch_vccnz .LBB2_20
; %bb.19:
	s_load_dword s3, s[40:41], 0x0
	s_waitcnt lgkmcnt(0)
	v_cvt_f32_i32_e32 v16, s3
.LBB2_20:
	s_and_b32 s2, 0xffff, s2
	s_mul_i32 s6, s6, s2
	v_add_u32_e32 v0, s6, v0
	v_cmp_gt_u64_e32 vcc, s[14:15], v[0:1]
	s_and_b64 exec, exec, vcc
	s_cbranch_execz .LBB2_34
; %bb.21:
	s_load_dword s3, s[4:5], 0x78
	s_load_dwordx4 s[8:11], s[4:5], 0x60
	v_mov_b32_e32 v17, 0x3ff00000
	s_mul_i32 s12, s7, s2
	s_movk_i32 s58, 0x204
	s_waitcnt lgkmcnt(0)
	s_bitcmp1_b32 s3, 8
	v_cvt_f64_u32_e32 v[2:3], s8
	v_cmp_neq_f32_e64 vcc, s11, 1.0
	v_cndmask_b32_e32 v9, v17, v3, vcc
	v_cndmask_b32_e32 v8, 0, v2, vcc
	s_cselect_b64 s[40:41], -1, 0
	s_bitcmp1_b32 s3, 16
	v_cvt_f64_f32_e32 v[4:5], s11
	v_cmp_neq_f64_e32 vcc, 0, v[8:9]
	s_cselect_b64 s[2:3], -1, 0
	v_cndmask_b32_e32 v7, v17, v5, vcc
	v_cndmask_b32_e32 v6, 0, v4, vcc
	s_xor_b64 s[42:43], s[2:3], -1
	v_cmp_class_f64_e64 s[4:5], v[6:7], s58
	v_cmp_eq_f64_e64 s[2:3], 0, v[6:7]
	s_or_b64 vcc, s[4:5], s[2:3]
	s_and_b64 s[2:3], s[2:3], exec
	v_trunc_f64_e32 v[4:5], v[8:9]
	v_cmp_eq_f64_e64 s[2:3], v[4:5], v[8:9]
	v_mul_f64 v[4:5], v[8:9], 0.5
	v_trunc_f64_e32 v[10:11], v[4:5]
	s_mov_b32 s46, 0x55555555
	v_cmp_neq_f64_e64 s[4:5], v[10:11], v[4:5]
	v_frexp_mant_f64_e64 v[4:5], |v[6:7]|
	s_mov_b32 s47, 0x3fe55555
	s_cselect_b32 s33, 0, 0x7ff00000
	s_and_b64 s[2:3], s[2:3], s[4:5]
	v_frexp_exp_i32_f64_e32 v10, v[6:7]
	v_cmp_gt_f64_e64 s[4:5], s[46:47], v[4:5]
	s_mov_b32 s13, 0
	v_subbrev_co_u32_e64 v6, s[6:7], 0, v10, s[4:5]
	s_and_b64 s[4:5], s[4:5], exec
	s_cselect_b32 s5, 2.0, 0x3ff00000
	s_mov_b32 s4, s13
	v_mul_f64 v[4:5], v[4:5], s[4:5]
	v_add_f64 v[18:19], v[4:5], 1.0
	v_rcp_f64_e32 v[20:21], v[18:19]
	v_add_f64 v[22:23], v[4:5], -1.0
	v_add_f64 v[28:29], v[18:19], -1.0
	v_add_f64 v[4:5], v[4:5], -v[28:29]
	v_fma_f64 v[24:25], -v[18:19], v[20:21], 1.0
	v_fmac_f64_e32 v[20:21], v[24:25], v[20:21]
	v_fma_f64 v[24:25], -v[18:19], v[20:21], 1.0
	v_fmac_f64_e32 v[20:21], v[24:25], v[20:21]
	v_mul_f64 v[24:25], v[22:23], v[20:21]
	v_mul_f64 v[26:27], v[18:19], v[24:25]
	v_fma_f64 v[18:19], v[24:25], v[18:19], -v[26:27]
	v_fmac_f64_e32 v[18:19], v[24:25], v[4:5]
	v_add_f64 v[4:5], v[26:27], v[18:19]
	v_add_f64 v[28:29], v[22:23], -v[4:5]
	v_add_f64 v[26:27], v[4:5], -v[26:27]
	;; [unrolled: 1-line block ×5, first 2 shown]
	v_add_f64 v[4:5], v[18:19], v[4:5]
	v_add_f64 v[4:5], v[28:29], v[4:5]
	v_mul_f64 v[4:5], v[20:21], v[4:5]
	v_add_f64 v[18:19], v[24:25], v[4:5]
	v_add_f64 v[24:25], v[18:19], -v[24:25]
	v_mul_f64 v[22:23], v[18:19], v[18:19]
	v_add_f64 v[24:25], v[4:5], -v[24:25]
	v_add_f64 v[4:5], v[24:25], v[24:25]
	v_fma_f64 v[26:27], v[18:19], v[18:19], -v[22:23]
	v_fmac_f64_e32 v[26:27], v[18:19], v[4:5]
	v_add_f64 v[28:29], v[22:23], v[26:27]
	s_mov_b32 s4, 0x968915a9
	v_add_f64 v[4:5], v[28:29], -v[22:23]
	s_mov_b32 s5, 0x3fba6564
	s_mov_b32 s6, 0x4222de17
	v_add_f64 v[22:23], v[26:27], -v[4:5]
	s_mov_b32 s7, 0x3fbdee67
	v_pk_mov_b32 v[4:5], s[4:5], s[4:5] op_sel:[0,1]
	s_mov_b32 s4, 0x3abe935a
	v_fma_f64 v[32:33], s[6:7], v[28:29], v[4:5]
	s_mov_b32 s5, 0x3fbe25e4
	v_fma_f64 v[32:33], v[28:29], v[32:33], s[4:5]
	s_mov_b32 s4, 0x47e6c9c2
	s_mov_b32 s5, 0x3fc110ef
	v_fma_f64 v[32:33], v[28:29], v[32:33], s[4:5]
	s_mov_b32 s4, 0xcfa74449
	s_mov_b32 s5, 0x3fc3b13b
	;; [unrolled: 1-line block ×3, first 2 shown]
	v_fma_f64 v[32:33], v[28:29], v[32:33], s[4:5]
	s_mov_b32 s61, 0x3fc745d1
	s_mov_b32 s68, 0x1c7792ce
	v_fma_f64 v[32:33], v[28:29], v[32:33], s[60:61]
	s_mov_b32 s69, 0x3fcc71c7
	s_mov_b32 s72, 0x924920da
	;; [unrolled: 3-line block ×3, first 2 shown]
	v_fma_f64 v[32:33], v[28:29], v[32:33], s[72:73]
	s_mov_b32 s75, 0x3fd99999
	v_mul_f64 v[30:31], v[18:19], v[28:29]
	v_fma_f64 v[32:33], v[28:29], v[32:33], s[74:75]
	v_fma_f64 v[26:27], v[28:29], v[18:19], -v[30:31]
	v_mul_f64 v[34:35], v[28:29], v[32:33]
	v_fmac_f64_e32 v[26:27], v[28:29], v[24:25]
	v_fma_f64 v[28:29], v[28:29], v[32:33], -v[34:35]
	v_fmac_f64_e32 v[28:29], v[22:23], v[32:33]
	v_fmac_f64_e32 v[26:27], v[22:23], v[18:19]
	v_add_f64 v[22:23], v[34:35], v[28:29]
	v_add_f64 v[32:33], v[22:23], s[46:47]
	v_add_f64 v[34:35], v[22:23], -v[34:35]
	s_mov_b32 s66, 0xd5df274d
	s_mov_b32 s71, 0xbfe55555
	;; [unrolled: 1-line block ×3, first 2 shown]
	v_add_f64 v[28:29], v[28:29], -v[34:35]
	s_mov_b32 s67, 0x3c8543b0
	v_add_f64 v[34:35], v[32:33], s[70:71]
	v_add_f64 v[28:29], v[28:29], s[66:67]
	v_add_f64 v[22:23], v[22:23], -v[34:35]
	v_ldexp_f64 v[20:21], v[18:19], 1
	v_add_f64 v[18:19], v[30:31], v[26:27]
	v_add_f64 v[22:23], v[28:29], v[22:23]
	;; [unrolled: 1-line block ×3, first 2 shown]
	v_add_f64 v[30:31], v[18:19], -v[30:31]
	v_mul_f64 v[34:35], v[18:19], v[28:29]
	v_add_f64 v[26:27], v[26:27], -v[30:31]
	v_add_f64 v[30:31], v[32:33], -v[28:29]
	v_add_f64 v[22:23], v[22:23], v[30:31]
	v_fma_f64 v[30:31], v[18:19], v[28:29], -v[34:35]
	v_fmac_f64_e32 v[30:31], v[18:19], v[22:23]
	v_fmac_f64_e32 v[30:31], v[26:27], v[28:29]
	s_mov_b32 s48, 0xfefa39ef
	v_add_f64 v[18:19], v[34:35], v[30:31]
	v_cvt_f64_i32_e32 v[14:15], v6
	s_mov_b32 s49, 0x3fe62e42
	v_add_f64 v[22:23], v[20:21], v[18:19]
	v_add_f64 v[26:27], v[18:19], -v[34:35]
	v_mul_f64 v[10:11], v[14:15], s[48:49]
	s_mov_b32 s50, 0x3b39803f
	v_ldexp_f64 v[24:25], v[24:25], 1
	v_add_f64 v[26:27], v[30:31], -v[26:27]
	v_add_f64 v[20:21], v[22:23], -v[20:21]
	v_fma_f64 v[12:13], v[14:15], s[48:49], -v[10:11]
	s_mov_b32 s51, 0x3c7abc9e
	v_add_f64 v[24:25], v[24:25], v[26:27]
	v_add_f64 v[18:19], v[18:19], -v[20:21]
	v_fmac_f64_e32 v[12:13], s[50:51], v[14:15]
	v_add_f64 v[18:19], v[24:25], v[18:19]
	v_add_f64 v[14:15], v[10:11], v[12:13]
	;; [unrolled: 1-line block ×4, first 2 shown]
	v_add_f64 v[10:11], v[14:15], -v[10:11]
	v_add_f64 v[10:11], v[12:13], -v[10:11]
	;; [unrolled: 1-line block ×7, first 2 shown]
	v_add_f64 v[18:19], v[10:11], v[12:13]
	v_add_f64 v[14:15], v[14:15], -v[22:23]
	v_add_f64 v[14:15], v[20:21], v[14:15]
	v_add_f64 v[22:23], v[18:19], -v[10:11]
	;; [unrolled: 2-line block ×4, first 2 shown]
	v_add_f64 v[10:11], v[10:11], -v[18:19]
	v_add_f64 v[10:11], v[12:13], v[10:11]
	v_add_f64 v[12:13], v[20:21], -v[24:25]
	v_add_f64 v[12:13], v[14:15], -v[12:13]
	v_add_f64 v[10:11], v[10:11], v[12:13]
	v_add_f64 v[12:13], v[20:21], v[10:11]
	v_mul_f64 v[18:19], v[8:9], v[12:13]
	v_add_f64 v[14:15], v[12:13], -v[20:21]
	v_add_f64 v[10:11], v[10:11], -v[14:15]
	v_fma_f64 v[12:13], v[8:9], v[12:13], -v[18:19]
	v_fmac_f64_e32 v[12:13], v[8:9], v[10:11]
	v_add_f64 v[10:11], v[18:19], v[12:13]
	v_cmp_class_f64_e64 s[4:5], v[18:19], s58
	s_mov_b32 s62, 0x652b82fe
	v_cndmask_b32_e64 v21, v11, v19, s[4:5]
	v_cndmask_b32_e64 v20, v10, v18, s[4:5]
	s_mov_b32 s63, 0x3ff71547
	v_mul_f64 v[8:9], v[20:21], s[62:63]
	v_rndne_f64_e32 v[14:15], v[8:9]
	s_mov_b32 s65, 0xbfe62e42
	s_mov_b32 s64, s48
	;; [unrolled: 1-line block ×3, first 2 shown]
	v_fma_f64 v[22:23], s[64:65], v[14:15], v[20:21]
	s_mov_b32 s5, 0x3e928af3
	s_mov_b32 s77, 0xbc7abc9e
	;; [unrolled: 1-line block ×4, first 2 shown]
	v_pk_mov_b32 v[8:9], s[4:5], s[4:5] op_sel:[0,1]
	v_fmac_f64_e32 v[22:23], s[76:77], v[14:15]
	s_mov_b32 s79, 0x3e5ade15
	s_mov_b32 s80, 0x623fde64
	v_fma_f64 v[24:25], s[78:79], v[22:23], v[8:9]
	s_mov_b32 s81, 0x3ec71dee
	s_mov_b32 s82, 0x7c89e6b0
	v_fma_f64 v[24:25], v[22:23], v[24:25], s[80:81]
	;; [unrolled: 3-line block ×8, first 2 shown]
	s_mov_b32 s57, 0x3fe00000
	v_fma_f64 v[24:25], v[22:23], v[24:25], s[56:57]
	v_fma_f64 v[24:25], v[22:23], v[24:25], 1.0
	v_fma_f64 v[22:23], v[22:23], v[24:25], 1.0
	v_cvt_i32_f64_e32 v6, v[14:15]
	s_mov_b32 s54, 0
	v_ldexp_f64 v[14:15], v[22:23], v6
	s_mov_b32 s55, 0x40900000
	s_mov_b32 s94, 0
	v_and_b32_e32 v23, 0x7fffffff, v15
	v_mov_b32_e32 v22, v14
	v_cmp_lt_f64_e64 s[4:5], s[54:55], v[20:21]
	s_mov_b32 s95, 0x7ff00000
	v_cndmask_b32_e64 v6, v14, 0, s[4:5]
	v_cmp_eq_f64_e64 s[6:7], s[94:95], v[22:23]
	v_mov_b32_e32 v14, 0x7ff00000
	v_add_f64 v[10:11], v[10:11], -v[18:19]
	s_mov_b32 s52, 0
	s_or_b64 s[6:7], s[4:5], s[6:7]
	v_cndmask_b32_e64 v15, v15, v14, s[4:5]
	v_add_f64 v[10:11], v[12:13], -v[10:11]
	v_cmp_neq_f64_e64 s[4:5], |v[20:21]|, s[94:95]
	s_mov_b32 s53, 0xc090cc00
	v_cndmask_b32_e64 v11, 0, v11, s[4:5]
	v_cndmask_b32_e64 v10, 0, v10, s[4:5]
	v_cmp_ngt_f64_e64 s[4:5], s[52:53], v[20:21]
	v_cndmask_b32_e64 v13, 0, v15, s[4:5]
	v_cndmask_b32_e64 v12, 0, v6, s[4:5]
	v_pk_mov_b32 v[18:19], v[12:13], v[12:13] op_sel:[0,1]
	v_fmac_f64_e32 v[18:19], v[18:19], v[10:11]
	s_and_b64 s[4:5], s[4:5], s[6:7]
	v_cndmask_b32_e64 v6, v18, v12, s[4:5]
	v_cndmask_b32_e64 v10, v19, v13, s[4:5]
	;; [unrolled: 1-line block ×4, first 2 shown]
	v_mov_b32_e32 v12, s33
	s_brev_b32 s8, -2
	v_bfi_b32 v11, s8, v12, v11
	v_bfi_b32 v7, s8, v10, v7
	v_cndmask_b32_e64 v6, v6, 0, vcc
	v_cndmask_b32_e32 v7, v7, v11, vcc
	v_add_f64 v[6:7], -v[6:7], 1.0
	v_cvt_f32_f64_e32 v6, v[6:7]
	s_mov_b32 s33, 0xf800000
	v_mul_f32_e32 v7, 0x4f800000, v6
	v_cmp_gt_f32_e32 vcc, s33, v6
	v_cndmask_b32_e32 v15, v6, v7, vcc
	v_sqrt_f32_e32 v6, v15
	v_add_u32_e32 v7, -1, v6
	v_fma_f32 v10, -v7, v6, v15
	v_cmp_ge_f32_e64 s[2:3], 0, v10
	v_add_u32_e32 v10, 1, v6
	v_cndmask_b32_e64 v7, v6, v7, s[2:3]
	v_fma_f32 v6, -v10, v6, v15
	v_cmp_lt_f32_e64 s[2:3], 0, v6
	v_cndmask_b32_e64 v6, v7, v10, s[2:3]
	v_mul_f32_e32 v7, 0x37800000, v6
	v_cndmask_b32_e32 v18, v6, v7, vcc
	v_cmp_neq_f32_e64 vcc, s10, 1.0
	v_cndmask_b32_e32 v7, v17, v3, vcc
	v_cndmask_b32_e32 v6, 0, v2, vcc
	v_cvt_f64_f32_e32 v[2:3], s10
	v_cmp_neq_f64_e32 vcc, 0, v[6:7]
	v_cndmask_b32_e32 v3, v17, v3, vcc
	v_cndmask_b32_e32 v2, 0, v2, vcc
	v_cmp_class_f64_e64 s[4:5], v[2:3], s58
	v_cmp_eq_f64_e64 s[2:3], 0, v[2:3]
	v_frexp_mant_f64_e64 v[20:21], |v[2:3]|
	s_or_b64 vcc, s[4:5], s[2:3]
	v_frexp_exp_i32_f64_e32 v10, v[2:3]
	v_cmp_gt_f64_e64 s[4:5], s[46:47], v[20:21]
	s_and_b64 s[2:3], s[2:3], exec
	v_subbrev_co_u32_e64 v2, s[2:3], 0, v10, s[4:5]
	v_cvt_f64_i32_e32 v[22:23], v2
	v_mul_f64 v[10:11], v[22:23], s[48:49]
	v_fma_f64 v[12:13], v[22:23], s[48:49], -v[10:11]
	v_mul_f64 v[24:25], v[6:7], 0.5
	v_fmac_f64_e32 v[12:13], s[50:51], v[22:23]
	v_trunc_f64_e32 v[22:23], v[6:7]
	v_trunc_f64_e32 v[26:27], v[24:25]
	v_cmp_eq_f64_e64 s[2:3], v[22:23], v[6:7]
	v_cmp_neq_f64_e64 s[6:7], v[26:27], v[24:25]
	s_cselect_b32 s50, 0, 0x7ff00000
	s_and_b64 s[2:3], s[2:3], s[6:7]
	s_and_b64 s[4:5], s[4:5], exec
	s_cselect_b32 s5, 2.0, 0x3ff00000
	s_mov_b32 s4, s13
	v_mul_f64 v[20:21], v[20:21], s[4:5]
	v_add_f64 v[22:23], v[20:21], 1.0
	v_rcp_f64_e32 v[24:25], v[22:23]
	v_add_f64 v[26:27], v[20:21], -1.0
	v_add_f64 v[32:33], v[22:23], -1.0
	v_add_f64 v[20:21], v[20:21], -v[32:33]
	v_fma_f64 v[28:29], -v[22:23], v[24:25], 1.0
	v_fmac_f64_e32 v[24:25], v[28:29], v[24:25]
	v_fma_f64 v[28:29], -v[22:23], v[24:25], 1.0
	v_fmac_f64_e32 v[24:25], v[28:29], v[24:25]
	v_mul_f64 v[28:29], v[26:27], v[24:25]
	v_mul_f64 v[30:31], v[22:23], v[28:29]
	v_fma_f64 v[22:23], v[28:29], v[22:23], -v[30:31]
	v_fmac_f64_e32 v[22:23], v[28:29], v[20:21]
	v_add_f64 v[20:21], v[30:31], v[22:23]
	v_add_f64 v[32:33], v[26:27], -v[20:21]
	v_add_f64 v[30:31], v[20:21], -v[30:31]
	;; [unrolled: 1-line block ×5, first 2 shown]
	v_add_f64 v[20:21], v[22:23], v[20:21]
	v_add_f64 v[20:21], v[32:33], v[20:21]
	v_mul_f64 v[20:21], v[24:25], v[20:21]
	v_add_f64 v[22:23], v[28:29], v[20:21]
	v_add_f64 v[26:27], v[22:23], -v[28:29]
	v_mul_f64 v[24:25], v[22:23], v[22:23]
	v_add_f64 v[20:21], v[20:21], -v[26:27]
	v_add_f64 v[26:27], v[20:21], v[20:21]
	v_fma_f64 v[28:29], v[22:23], v[22:23], -v[24:25]
	v_fmac_f64_e32 v[28:29], v[22:23], v[26:27]
	s_mov_b32 s4, 0x4222de17
	v_add_f64 v[26:27], v[24:25], v[28:29]
	s_mov_b32 s5, 0x3fbdee67
	v_fmac_f64_e32 v[4:5], s[4:5], v[26:27]
	s_mov_b32 s4, 0x3abe935a
	s_mov_b32 s5, 0x3fbe25e4
	v_fma_f64 v[4:5], v[26:27], v[4:5], s[4:5]
	s_mov_b32 s4, 0x47e6c9c2
	s_mov_b32 s5, 0x3fc110ef
	v_fma_f64 v[4:5], v[26:27], v[4:5], s[4:5]
	;; [unrolled: 3-line block ×3, first 2 shown]
	v_fma_f64 v[4:5], v[26:27], v[4:5], s[60:61]
	v_fma_f64 v[4:5], v[26:27], v[4:5], s[68:69]
	;; [unrolled: 1-line block ×4, first 2 shown]
	v_add_f64 v[24:25], v[26:27], -v[24:25]
	v_add_f64 v[24:25], v[28:29], -v[24:25]
	v_mul_f64 v[28:29], v[26:27], v[4:5]
	v_fma_f64 v[30:31], v[26:27], v[4:5], -v[28:29]
	v_fmac_f64_e32 v[30:31], v[24:25], v[4:5]
	v_add_f64 v[4:5], v[28:29], v[30:31]
	v_add_f64 v[32:33], v[4:5], s[46:47]
	v_add_f64 v[28:29], v[4:5], -v[28:29]
	v_mul_f64 v[38:39], v[22:23], v[26:27]
	v_add_f64 v[28:29], v[30:31], -v[28:29]
	v_add_f64 v[30:31], v[32:33], s[70:71]
	v_fma_f64 v[40:41], v[26:27], v[22:23], -v[38:39]
	v_add_f64 v[28:29], v[28:29], s[66:67]
	v_fmac_f64_e32 v[40:41], v[26:27], v[20:21]
	v_add_f64 v[4:5], v[4:5], -v[30:31]
	v_fmac_f64_e32 v[40:41], v[24:25], v[22:23]
	v_add_f64 v[4:5], v[28:29], v[4:5]
	v_ldexp_f64 v[36:37], v[22:23], 1
	v_add_f64 v[22:23], v[38:39], v[40:41]
	v_add_f64 v[24:25], v[32:33], v[4:5]
	v_mul_f64 v[26:27], v[22:23], v[24:25]
	v_add_f64 v[30:31], v[32:33], -v[24:25]
	v_add_f64 v[28:29], v[22:23], -v[38:39]
	v_add_f64 v[4:5], v[4:5], v[30:31]
	v_fma_f64 v[30:31], v[22:23], v[24:25], -v[26:27]
	v_add_f64 v[28:29], v[40:41], -v[28:29]
	v_fmac_f64_e32 v[30:31], v[22:23], v[4:5]
	v_fmac_f64_e32 v[30:31], v[28:29], v[24:25]
	v_add_f64 v[4:5], v[26:27], v[30:31]
	v_add_f64 v[24:25], v[4:5], -v[26:27]
	v_add_f64 v[22:23], v[36:37], v[4:5]
	v_ldexp_f64 v[20:21], v[20:21], 1
	v_add_f64 v[24:25], v[30:31], -v[24:25]
	v_add_f64 v[20:21], v[20:21], v[24:25]
	v_add_f64 v[24:25], v[22:23], -v[36:37]
	v_add_f64 v[4:5], v[4:5], -v[24:25]
	v_add_f64 v[4:5], v[20:21], v[4:5]
	v_add_f64 v[34:35], v[10:11], v[12:13]
	;; [unrolled: 1-line block ×4, first 2 shown]
	v_add_f64 v[10:11], v[34:35], -v[10:11]
	v_add_f64 v[10:11], v[12:13], -v[10:11]
	;; [unrolled: 1-line block ×7, first 2 shown]
	v_add_f64 v[12:13], v[10:11], v[4:5]
	v_add_f64 v[22:23], v[34:35], -v[22:23]
	v_add_f64 v[20:21], v[20:21], v[22:23]
	v_add_f64 v[26:27], v[12:13], -v[10:11]
	;; [unrolled: 2-line block ×4, first 2 shown]
	v_add_f64 v[10:11], v[10:11], -v[12:13]
	v_add_f64 v[4:5], v[4:5], v[10:11]
	v_add_f64 v[10:11], v[22:23], -v[24:25]
	v_add_f64 v[10:11], v[20:21], -v[10:11]
	v_add_f64 v[4:5], v[4:5], v[10:11]
	v_add_f64 v[10:11], v[22:23], v[4:5]
	v_mul_f64 v[20:21], v[6:7], v[10:11]
	v_add_f64 v[12:13], v[10:11], -v[22:23]
	v_add_f64 v[4:5], v[4:5], -v[12:13]
	v_fma_f64 v[22:23], v[6:7], v[10:11], -v[20:21]
	v_fmac_f64_e32 v[22:23], v[6:7], v[4:5]
	v_add_f64 v[4:5], v[20:21], v[22:23]
	v_cmp_class_f64_e64 s[4:5], v[20:21], s58
	v_cndmask_b32_e64 v7, v5, v21, s[4:5]
	v_cndmask_b32_e64 v6, v4, v20, s[4:5]
	v_mul_f64 v[24:25], v[6:7], s[62:63]
	v_rndne_f64_e32 v[24:25], v[24:25]
	v_fma_f64 v[26:27], s[64:65], v[24:25], v[6:7]
	v_fmac_f64_e32 v[26:27], s[76:77], v[24:25]
	v_fmac_f64_e32 v[8:9], s[78:79], v[26:27]
	v_fma_f64 v[8:9], v[26:27], v[8:9], s[80:81]
	v_fma_f64 v[8:9], v[26:27], v[8:9], s[82:83]
	;; [unrolled: 1-line block ×7, first 2 shown]
	v_mov_b32_e32 v2, s44
	v_fma_f64 v[8:9], v[26:27], v[8:9], s[56:57]
	v_mul_f32_e32 v10, s9, v2
	v_cndmask_b32_e64 v2, 0, v3, s[2:3]
	v_mov_b32_e32 v13, s50
	v_fma_f64 v[8:9], v[26:27], v[8:9], 1.0
	v_bfi_b32 v13, s8, v13, v2
	v_fma_f64 v[8:9], v[26:27], v[8:9], 1.0
	v_cvt_i32_f64_e32 v2, v[24:25]
	v_ldexp_f64 v[8:9], v[8:9], v2
	v_and_b32_e32 v25, 0x7fffffff, v9
	v_mov_b32_e32 v24, v8
	v_cmp_eq_f64_e64 s[4:5], s[94:95], v[24:25]
	v_cmp_lt_f64_e64 s[6:7], s[54:55], v[6:7]
	v_cndmask_b32_e64 v2, v8, 0, s[6:7]
	s_or_b64 s[50:51], s[6:7], s[4:5]
	v_cndmask_b32_e64 v8, v9, v14, s[6:7]
	v_cmp_ngt_f64_e64 s[4:5], s[52:53], v[6:7]
	v_add_f64 v[4:5], v[4:5], -v[20:21]
	v_cndmask_b32_e64 v9, 0, v8, s[4:5]
	v_cndmask_b32_e64 v8, 0, v2, s[4:5]
	v_add_f64 v[4:5], v[22:23], -v[4:5]
	v_cmp_neq_f64_e64 s[6:7], |v[6:7]|, s[94:95]
	v_cndmask_b32_e64 v5, 0, v5, s[6:7]
	v_cndmask_b32_e64 v4, 0, v4, s[6:7]
	v_pk_mov_b32 v[6:7], v[8:9], v[8:9] op_sel:[0,1]
	v_fmac_f64_e32 v[6:7], v[6:7], v[4:5]
	s_and_b64 s[4:5], s[4:5], s[50:51]
	v_cndmask_b32_e64 v4, v7, v9, s[4:5]
	v_cndmask_b32_e64 v3, v17, v3, s[2:3]
	v_cndmask_b32_e64 v2, v6, v8, s[4:5]
	v_bfi_b32 v3, s8, v4, v3
	v_cndmask_b32_e64 v2, v2, 0, vcc
	v_cndmask_b32_e32 v3, v3, v13, vcc
	v_add_f64 v[2:3], -v[2:3], 1.0
	v_cvt_f32_f64_e32 v2, v[2:3]
	v_div_scale_f32 v3, s[2:3], v2, v2, s9
	v_rcp_f32_e32 v4, v3
	v_mov_b32_e32 v12, 0x260
	v_cmp_class_f32_e32 vcc, v15, v12
	v_cndmask_b32_e32 v8, v18, v15, vcc
	v_fma_f32 v5, -v3, v4, 1.0
	v_fmac_f32_e32 v4, v5, v4
	v_div_scale_f32 v5, vcc, s9, v2, s9
	v_mul_f32_e32 v6, v5, v4
	v_fma_f32 v7, -v3, v6, v5
	v_fmac_f32_e32 v6, v7, v4
	v_fma_f32 v3, -v3, v6, v5
	v_div_fmas_f32 v3, v3, v4, v6
	v_lshlrev_b64 v[4:5], 1, v[0:1]
	s_cmp_lg_u64 s[20:21], 0
	v_mov_b32_e32 v6, s21
	v_add_co_u32_e32 v4, vcc, s20, v4
	v_cmp_neq_f32_e64 s[46:47], s44, 0
	v_sub_f32_e64 v11, 1.0, s11
	s_mov_b64 s[48:49], 0
	v_sub_f32_e64 v9, 1.0, s10
	v_div_fixup_f32 v13, v3, v2, s9
	s_cselect_b64 s[4:5], -1, 0
	v_lshlrev_b64 v[2:3], 2, v[0:1]
	s_lshl_b64 s[6:7], s[12:13], 2
	v_addc_co_u32_e32 v5, vcc, v6, v5, vcc
	s_lshl_b64 s[8:9], s[12:13], 1
	s_branch .LBB2_23
.LBB2_22:                               ;   in Loop: Header=BB2_23 Depth=1
	s_add_u32 s22, s22, s6
	s_addc_u32 s23, s23, s7
	s_add_u32 s16, s16, s6
	s_addc_u32 s17, s17, s7
	;; [unrolled: 2-line block ×7, first 2 shown]
	s_add_u32 s26, s26, s6
	v_mov_b32_e32 v6, s13
	v_add_co_u32_e32 v0, vcc, s12, v0
	s_addc_u32 s27, s27, s7
	v_addc_co_u32_e32 v1, vcc, v1, v6, vcc
	s_add_u32 s30, s30, s6
	s_addc_u32 s31, s31, s7
	v_cmp_le_u64_e32 vcc, s[14:15], v[0:1]
	v_mov_b32_e32 v6, s9
	s_or_b64 s[48:49], vcc, s[48:49]
	v_add_co_u32_e32 v4, vcc, s8, v4
	v_addc_co_u32_e32 v5, vcc, v5, v6, vcc
	s_andn2_b64 exec, exec, s[48:49]
	s_cbranch_execz .LBB2_34
.LBB2_23:                               ; =>This Inner Loop Header: Depth=1
	v_mov_b32_e32 v7, s23
	v_add_co_u32_e32 v6, vcc, s22, v2
	v_addc_co_u32_e32 v7, vcc, v7, v3, vcc
	global_load_dword v18, v[6:7], off
	v_mov_b32_e32 v7, s17
	v_add_co_u32_e32 v6, vcc, s16, v2
	v_addc_co_u32_e32 v7, vcc, v7, v3, vcc
	global_load_dword v6, v[6:7], off
	;; [unrolled: 4-line block ×4, first 2 shown]
	s_waitcnt vmcnt(3)
	v_div_scale_f32 v14, s[2:3], v16, v16, v18
	v_rcp_f32_e32 v15, v14
	v_div_scale_f32 v19, vcc, v18, v16, v18
	v_fma_f32 v20, -v14, v15, 1.0
	v_fmac_f32_e32 v15, v20, v15
	v_mul_f32_e32 v20, v19, v15
	v_fma_f32 v21, -v14, v20, v19
	v_fmac_f32_e32 v20, v21, v15
	v_fma_f32 v14, -v14, v20, v19
	v_div_fmas_f32 v14, v14, v15, v20
	v_div_fixup_f32 v14, v14, v16, v18
	v_cndmask_b32_e64 v14, v14, v18, s[0:1]
	s_andn2_b64 vcc, exec, s[46:47]
	v_cndmask_b32_e64 v15, v14, -v14, s[40:41]
	s_cbranch_vccnz .LBB2_29
; %bb.24:                               ;   in Loop: Header=BB2_23 Depth=1
	s_and_b64 vcc, exec, s[42:43]
	s_cbranch_vccz .LBB2_26
; %bb.25:                               ;   in Loop: Header=BB2_23 Depth=1
	s_waitcnt vmcnt(2)
	v_fma_f32 v14, s44, v6, v15
	s_cbranch_execz .LBB2_27
	s_branch .LBB2_28
.LBB2_26:                               ;   in Loop: Header=BB2_23 Depth=1
                                        ; implicit-def: $vgpr14
.LBB2_27:                               ;   in Loop: Header=BB2_23 Depth=1
	s_waitcnt vmcnt(2)
	v_fma_f32 v6, -v10, v6, v6
	v_mov_b32_e32 v14, v15
.LBB2_28:                               ;   in Loop: Header=BB2_23 Depth=1
	v_mov_b32_e32 v15, v14
.LBB2_29:                               ;   in Loop: Header=BB2_23 Depth=1
	v_mul_f32_e32 v14, v15, v15
	v_mul_f32_e32 v14, v11, v14
	s_waitcnt vmcnt(0)
	v_fmac_f32_e32 v14, s11, v17
	s_andn2_b64 vcc, exec, s[34:35]
	v_mov_b32_e32 v17, v14
	s_cbranch_vccnz .LBB2_31
; %bb.30:                               ;   in Loop: Header=BB2_23 Depth=1
	v_mov_b32_e32 v17, s37
	v_add_co_u32_e32 v18, vcc, s36, v2
	v_addc_co_u32_e32 v19, vcc, v17, v3, vcc
	global_load_dword v17, v[18:19], off
	v_max_f32_e32 v18, v14, v14
	v_mov_b32_e32 v19, s39
	s_waitcnt vmcnt(0)
	v_max_f32_e32 v17, v17, v17
	v_max_f32_e32 v17, v17, v18
	v_add_co_u32_e32 v18, vcc, s38, v2
	v_addc_co_u32_e32 v19, vcc, v19, v3, vcc
	global_store_dword v[18:19], v17, off
.LBB2_31:                               ;   in Loop: Header=BB2_23 Depth=1
	v_mul_f32_e32 v18, 0x4f800000, v17
	v_cmp_gt_f32_e32 vcc, s33, v17
	v_cndmask_b32_e32 v17, v17, v18, vcc
	v_sqrt_f32_e32 v18, v17
	v_add_u32_e32 v19, -1, v18
	v_fma_f32 v21, -v19, v18, v17
	v_add_u32_e32 v20, 1, v18
	v_cmp_ge_f32_e64 s[2:3], 0, v21
	v_cndmask_b32_e64 v19, v18, v19, s[2:3]
	v_fma_f32 v18, -v20, v18, v17
	v_cmp_lt_f32_e64 s[2:3], 0, v18
	v_cndmask_b32_e64 v18, v19, v20, s[2:3]
	v_mul_f32_e32 v19, 0x37800000, v18
	v_cndmask_b32_e32 v18, v18, v19, vcc
	v_cmp_class_f32_e32 vcc, v17, v12
	v_cndmask_b32_e32 v17, v18, v17, vcc
	v_div_scale_f32 v18, s[2:3], v8, v8, v17
	v_rcp_f32_e32 v19, v18
	v_fma_f32 v20, -v18, v19, 1.0
	v_fmac_f32_e32 v19, v20, v19
	v_div_scale_f32 v20, vcc, v17, v8, v17
	v_mul_f32_e32 v21, v20, v19
	v_fma_f32 v22, -v18, v21, v20
	v_fmac_f32_e32 v21, v22, v19
	v_fma_f32 v18, -v18, v21, v20
	v_div_fmas_f32 v18, v18, v19, v21
	v_div_fixup_f32 v19, v18, v8, v17
	v_mul_f32_e32 v18, s10, v7
	v_mul_f32_e32 v20, v9, v15
	v_mov_b32_e32 v21, s45
	v_pk_add_f32 v[18:19], v[18:19], v[20:21]
	v_mul_f32_e32 v7, v13, v18
	v_div_scale_f32 v15, s[2:3], v19, v19, v7
	v_rcp_f32_e32 v17, v15
	v_fma_f32 v20, -v15, v17, 1.0
	v_fmac_f32_e32 v17, v20, v17
	v_div_scale_f32 v20, vcc, v7, v19, v7
	v_mul_f32_e32 v21, v20, v17
	v_fma_f32 v22, -v15, v21, v20
	v_fmac_f32_e32 v21, v22, v17
	v_fma_f32 v15, -v15, v21, v20
	v_div_fmas_f32 v15, v15, v17, v21
	v_div_fixup_f32 v7, v15, v19, v7
	v_sub_f32_e32 v15, v6, v7
	v_mov_b32_e32 v7, s19
	v_add_co_u32_e32 v6, vcc, s18, v2
	v_addc_co_u32_e32 v7, vcc, v7, v3, vcc
	global_store_dword v[6:7], v15, off
	v_mov_b32_e32 v15, s27
	v_add_co_u32_e32 v20, vcc, s26, v2
	v_addc_co_u32_e32 v21, vcc, v15, v3, vcc
	global_store_dword v[20:21], v18, off
	v_mov_b32_e32 v15, s31
	v_add_co_u32_e32 v18, vcc, s30, v2
	v_addc_co_u32_e32 v19, vcc, v15, v3, vcc
	s_andn2_b64 vcc, exec, s[4:5]
	global_store_dword v[18:19], v14, off
	s_cbranch_vccnz .LBB2_22
; %bb.32:                               ;   in Loop: Header=BB2_23 Depth=1
	global_load_dword v6, v[6:7], off
	s_waitcnt vmcnt(0)
	v_cvt_f16_f32_e32 v6, v6
	global_store_short v[4:5], v6, off
	s_branch .LBB2_22
.LBB2_33:
	s_cbranch_execnz .LBB2_18
.LBB2_34:
	s_endpgm
	.section	.rodata,"a",@progbits
	.p2align	6, 0x0
	.amdhsa_kernel AmpAdamContiguous
		.amdhsa_group_segment_fixed_size 0
		.amdhsa_private_segment_fixed_size 0
		.amdhsa_kernarg_size 392
		.amdhsa_user_sgpr_count 6
		.amdhsa_user_sgpr_private_segment_buffer 1
		.amdhsa_user_sgpr_dispatch_ptr 0
		.amdhsa_user_sgpr_queue_ptr 0
		.amdhsa_user_sgpr_kernarg_segment_ptr 1
		.amdhsa_user_sgpr_dispatch_id 0
		.amdhsa_user_sgpr_flat_scratch_init 0
		.amdhsa_user_sgpr_kernarg_preload_length 0
		.amdhsa_user_sgpr_kernarg_preload_offset 0
		.amdhsa_user_sgpr_private_segment_size 0
		.amdhsa_uses_dynamic_stack 0
		.amdhsa_system_sgpr_private_segment_wavefront_offset 0
		.amdhsa_system_sgpr_workgroup_id_x 1
		.amdhsa_system_sgpr_workgroup_id_y 0
		.amdhsa_system_sgpr_workgroup_id_z 0
		.amdhsa_system_sgpr_workgroup_info 0
		.amdhsa_system_vgpr_workitem_id 0
		.amdhsa_next_free_vgpr 42
		.amdhsa_next_free_sgpr 96
		.amdhsa_accum_offset 44
		.amdhsa_reserve_vcc 1
		.amdhsa_reserve_flat_scratch 0
		.amdhsa_float_round_mode_32 0
		.amdhsa_float_round_mode_16_64 0
		.amdhsa_float_denorm_mode_32 3
		.amdhsa_float_denorm_mode_16_64 3
		.amdhsa_dx10_clamp 1
		.amdhsa_ieee_mode 1
		.amdhsa_fp16_overflow 0
		.amdhsa_tg_split 0
		.amdhsa_exception_fp_ieee_invalid_op 0
		.amdhsa_exception_fp_denorm_src 0
		.amdhsa_exception_fp_ieee_div_zero 0
		.amdhsa_exception_fp_ieee_overflow 0
		.amdhsa_exception_fp_ieee_underflow 0
		.amdhsa_exception_fp_ieee_inexact 0
		.amdhsa_exception_int_div_zero 0
	.end_amdhsa_kernel
	.text
.Lfunc_end2:
	.size	AmpAdamContiguous, .Lfunc_end2-AmpAdamContiguous
                                        ; -- End function
	.section	.AMDGPU.csdata,"",@progbits
; Kernel info:
; codeLenInByte = 5200
; NumSgprs: 100
; NumVgprs: 42
; NumAgprs: 0
; TotalNumVgprs: 42
; ScratchSize: 0
; MemoryBound: 0
; FloatMode: 240
; IeeeMode: 1
; LDSByteSize: 0 bytes/workgroup (compile time only)
; SGPRBlocks: 12
; VGPRBlocks: 5
; NumSGPRsForWavesPerEU: 100
; NumVGPRsForWavesPerEU: 42
; AccumOffset: 44
; Occupancy: 8
; WaveLimiterHint : 0
; COMPUTE_PGM_RSRC2:SCRATCH_EN: 0
; COMPUTE_PGM_RSRC2:USER_SGPR: 6
; COMPUTE_PGM_RSRC2:TRAP_HANDLER: 0
; COMPUTE_PGM_RSRC2:TGID_X_EN: 1
; COMPUTE_PGM_RSRC2:TGID_Y_EN: 0
; COMPUTE_PGM_RSRC2:TGID_Z_EN: 0
; COMPUTE_PGM_RSRC2:TIDIG_COMP_CNT: 0
; COMPUTE_PGM_RSRC3_GFX90A:ACCUM_OFFSET: 10
; COMPUTE_PGM_RSRC3_GFX90A:TG_SPLIT: 0
	.text
	.protected	AdamUpdateStep          ; -- Begin function AdamUpdateStep
	.globl	AdamUpdateStep
	.p2align	8
	.type	AdamUpdateStep,@function
AdamUpdateStep:                         ; @AdamUpdateStep
; %bb.0:
	s_load_dword s0, s[4:5], 0x24
	v_sub_u32_e32 v0, 0, v0
	s_waitcnt lgkmcnt(0)
	s_and_b32 s0, s0, 0xffff
	s_mul_i32 s6, s6, s0
	v_cmp_eq_u32_e32 vcc, s6, v0
	s_and_saveexec_b64 s[0:1], vcc
	s_cbranch_execz .LBB3_10
; %bb.1:
	s_load_dwordx4 s[0:3], s[4:5], 0x0
	s_load_dwordx2 s[6:7], s[4:5], 0x10
	s_mov_b64 s[4:5], 0
	s_waitcnt lgkmcnt(0)
	s_cmp_eq_u64 s[0:1], 0
	s_cselect_b64 s[8:9], -1, 0
	s_and_b64 vcc, exec, s[8:9]
	s_cbranch_vccnz .LBB3_6
; %bb.2:
	v_mov_b32_e32 v0, 0
	global_load_ubyte v0, v0, s[0:1]
	s_waitcnt vmcnt(0)
	v_readfirstlane_b32 s0, v0
	s_bitcmp1_b32 s0, 0
	s_cselect_b64 s[0:1], -1, 0
	s_and_b64 vcc, exec, s[0:1]
	s_cbranch_vccz .LBB3_5
; %bb.3:
	s_cmp_lg_u64 s[2:3], s[6:7]
	s_mov_b64 s[8:9], 0
	s_cbranch_scc0 .LBB3_6
; %bb.4:
	s_load_dword s0, s[2:3], 0x0
	s_mov_b64 s[4:5], -1
	s_and_b64 vcc, exec, s[8:9]
	s_cbranch_vccnz .LBB3_7
	s_branch .LBB3_8
.LBB3_5:
	s_mov_b64 s[8:9], -1
.LBB3_6:
                                        ; implicit-def: $sgpr0
	s_and_b64 vcc, exec, s[8:9]
	s_cbranch_vccz .LBB3_8
.LBB3_7:
	s_waitcnt lgkmcnt(0)
	s_load_dword s0, s[2:3], 0x0
	s_mov_b64 s[4:5], -1
	s_waitcnt lgkmcnt(0)
	s_add_i32 s0, s0, 1
.LBB3_8:
	s_andn2_b64 vcc, exec, s[4:5]
	s_cbranch_vccnz .LBB3_10
; %bb.9:
	v_mov_b32_e32 v0, 0
	s_waitcnt lgkmcnt(0)
	v_mov_b32_e32 v1, s0
	global_store_dword v0, v1, s[6:7]
.LBB3_10:
	s_endpgm
	.section	.rodata,"a",@progbits
	.p2align	6, 0x0
	.amdhsa_kernel AdamUpdateStep
		.amdhsa_group_segment_fixed_size 0
		.amdhsa_private_segment_fixed_size 0
		.amdhsa_kernarg_size 280
		.amdhsa_user_sgpr_count 6
		.amdhsa_user_sgpr_private_segment_buffer 1
		.amdhsa_user_sgpr_dispatch_ptr 0
		.amdhsa_user_sgpr_queue_ptr 0
		.amdhsa_user_sgpr_kernarg_segment_ptr 1
		.amdhsa_user_sgpr_dispatch_id 0
		.amdhsa_user_sgpr_flat_scratch_init 0
		.amdhsa_user_sgpr_kernarg_preload_length 0
		.amdhsa_user_sgpr_kernarg_preload_offset 0
		.amdhsa_user_sgpr_private_segment_size 0
		.amdhsa_uses_dynamic_stack 0
		.amdhsa_system_sgpr_private_segment_wavefront_offset 0
		.amdhsa_system_sgpr_workgroup_id_x 1
		.amdhsa_system_sgpr_workgroup_id_y 0
		.amdhsa_system_sgpr_workgroup_id_z 0
		.amdhsa_system_sgpr_workgroup_info 0
		.amdhsa_system_vgpr_workitem_id 0
		.amdhsa_next_free_vgpr 2
		.amdhsa_next_free_sgpr 10
		.amdhsa_accum_offset 4
		.amdhsa_reserve_vcc 1
		.amdhsa_reserve_flat_scratch 0
		.amdhsa_float_round_mode_32 0
		.amdhsa_float_round_mode_16_64 0
		.amdhsa_float_denorm_mode_32 3
		.amdhsa_float_denorm_mode_16_64 3
		.amdhsa_dx10_clamp 1
		.amdhsa_ieee_mode 1
		.amdhsa_fp16_overflow 0
		.amdhsa_tg_split 0
		.amdhsa_exception_fp_ieee_invalid_op 0
		.amdhsa_exception_fp_denorm_src 0
		.amdhsa_exception_fp_ieee_div_zero 0
		.amdhsa_exception_fp_ieee_overflow 0
		.amdhsa_exception_fp_ieee_underflow 0
		.amdhsa_exception_fp_ieee_inexact 0
		.amdhsa_exception_int_div_zero 0
	.end_amdhsa_kernel
	.text
.Lfunc_end3:
	.size	AdamUpdateStep, .Lfunc_end3-AdamUpdateStep
                                        ; -- End function
	.section	.AMDGPU.csdata,"",@progbits
; Kernel info:
; codeLenInByte = 220
; NumSgprs: 14
; NumVgprs: 2
; NumAgprs: 0
; TotalNumVgprs: 2
; ScratchSize: 0
; MemoryBound: 0
; FloatMode: 240
; IeeeMode: 1
; LDSByteSize: 0 bytes/workgroup (compile time only)
; SGPRBlocks: 1
; VGPRBlocks: 0
; NumSGPRsForWavesPerEU: 14
; NumVGPRsForWavesPerEU: 2
; AccumOffset: 4
; Occupancy: 8
; WaveLimiterHint : 0
; COMPUTE_PGM_RSRC2:SCRATCH_EN: 0
; COMPUTE_PGM_RSRC2:USER_SGPR: 6
; COMPUTE_PGM_RSRC2:TRAP_HANDLER: 0
; COMPUTE_PGM_RSRC2:TGID_X_EN: 1
; COMPUTE_PGM_RSRC2:TGID_Y_EN: 0
; COMPUTE_PGM_RSRC2:TGID_Z_EN: 0
; COMPUTE_PGM_RSRC2:TIDIG_COMP_CNT: 0
; COMPUTE_PGM_RSRC3_GFX90A:ACCUM_OFFSET: 0
; COMPUTE_PGM_RSRC3_GFX90A:TG_SPLIT: 0
	.text
	.protected	TransformersAdamWContiguous ; -- Begin function TransformersAdamWContiguous
	.globl	TransformersAdamWContiguous
	.p2align	8
	.type	TransformersAdamWContiguous,@function
TransformersAdamWContiguous:            ; @TransformersAdamWContiguous
; %bb.0:
	s_load_dword s7, s[4:5], 0x64
	s_load_dwordx2 s[2:3], s[4:5], 0x50
	s_add_u32 s0, s4, 0x58
	s_addc_u32 s1, s5, 0
	v_mov_b32_e32 v1, 0
	s_waitcnt lgkmcnt(0)
	s_and_b32 s7, s7, 0xffff
	s_mul_i32 s6, s6, s7
	v_add_u32_e32 v0, s6, v0
	v_cmp_gt_u64_e32 vcc, s[2:3], v[0:1]
	s_and_saveexec_b64 s[8:9], vcc
	s_cbranch_execz .LBB4_3
; %bb.1:
	s_load_dword s6, s[0:1], 0x0
	s_load_dwordx8 s[8:15], s[4:5], 0x0
	s_load_dwordx4 s[24:27], s[4:5], 0x38
	s_load_dwordx8 s[16:23], s[4:5], 0x20
	s_load_dword s28, s[4:5], 0x48
	s_waitcnt lgkmcnt(0)
	s_mul_i32 s4, s6, s7
	s_mov_b32 s5, 0
	s_lshl_b64 s[6:7], s[4:5], 2
	v_sub_f32_e64 v4, 1.0, s24
	v_sub_f32_e64 v5, 1.0, s25
	v_lshlrev_b64 v[2:3], 2, v[0:1]
	s_mov_b64 s[22:23], 0
	v_mov_b32_e32 v6, s13
	v_mov_b32_e32 v7, s9
	;; [unrolled: 1-line block ×4, first 2 shown]
	s_mov_b32 s9, 0xf800000
	v_mov_b32_e32 v10, 0x260
	v_mov_b32_e32 v11, s11
	;; [unrolled: 1-line block ×6, first 2 shown]
.LBB4_2:                                ; =>This Inner Loop Header: Depth=1
	v_add_co_u32_e32 v16, vcc, s12, v2
	v_addc_co_u32_e32 v17, vcc, v6, v3, vcc
	v_add_co_u32_e32 v18, vcc, s14, v2
	v_addc_co_u32_e32 v19, vcc, v8, v3, vcc
	;; [unrolled: 2-line block ×3, first 2 shown]
	global_load_dword v25, v[16:17], off
	global_load_dword v26, v[20:21], off
	;; [unrolled: 1-line block ×3, first 2 shown]
	v_add_co_u32_e32 v16, vcc, s8, v2
	v_addc_co_u32_e32 v17, vcc, v7, v3, vcc
	global_load_dword v27, v[16:17], off
	v_add_co_u32_e32 v18, vcc, s10, v2
	v_addc_co_u32_e32 v19, vcc, v11, v3, vcc
	v_add_co_u32_e32 v20, vcc, s16, v2
	v_addc_co_u32_e32 v21, vcc, v12, v3, vcc
	;; [unrolled: 2-line block ×5, first 2 shown]
	v_cmp_le_u64_e32 vcc, s[2:3], v[0:1]
	s_or_b64 s[22:23], vcc, s[22:23]
	v_mov_b32_e32 v17, s26
	s_waitcnt vmcnt(2)
	v_mul_f32_e32 v26, s25, v26
	s_waitcnt vmcnt(1)
	v_mul_f32_e32 v16, s24, v24
	v_mul_f32_e32 v24, v4, v25
	;; [unrolled: 1-line block ×3, first 2 shown]
	v_fmac_f32_e32 v26, v5, v25
	v_mul_f32_e32 v25, 0x4f800000, v26
	v_cmp_gt_f32_e32 vcc, s9, v26
	v_cndmask_b32_e32 v25, v26, v25, vcc
	v_sqrt_f32_e32 v28, v25
	v_add_u32_e32 v29, -1, v28
	v_add_u32_e32 v30, 1, v28
	v_fma_f32 v31, -v29, v28, v25
	v_fma_f32 v32, -v30, v28, v25
	v_cmp_ge_f32_e64 s[0:1], 0, v31
	v_cndmask_b32_e64 v28, v28, v29, s[0:1]
	v_cmp_lt_f32_e64 s[0:1], 0, v32
	v_cndmask_b32_e64 v28, v28, v30, s[0:1]
	v_mul_f32_e32 v29, 0x37800000, v28
	v_cndmask_b32_e32 v28, v28, v29, vcc
	v_cmp_class_f32_e32 vcc, v25, v10
	v_cndmask_b32_e32 v25, v28, v25, vcc
	v_pk_add_f32 v[16:17], v[24:25], v[16:17]
	v_mul_f32_e32 v24, s28, v16
	v_div_scale_f32 v25, s[0:1], v17, v17, v24
	v_rcp_f32_e32 v29, v25
	v_div_scale_f32 v28, vcc, v24, v17, v24
	v_fma_f32 v30, -v25, v29, 1.0
	v_fmac_f32_e32 v29, v30, v29
	v_mul_f32_e32 v30, v28, v29
	v_fma_f32 v31, -v25, v30, v28
	v_fmac_f32_e32 v30, v31, v29
	v_fma_f32 v25, -v25, v30, v28
	v_div_fmas_f32 v25, v25, v29, v30
	v_div_fixup_f32 v17, v25, v17, v24
	s_waitcnt vmcnt(0)
	v_sub_f32_e32 v17, v27, v17
	v_fma_f32 v17, -v17, s27, v17
	global_store_dword v[18:19], v17, off
	global_store_dword v[20:21], v16, off
	global_store_dword v[22:23], v26, off
	s_andn2_b64 exec, exec, s[22:23]
	s_cbranch_execnz .LBB4_2
.LBB4_3:
	s_endpgm
	.section	.rodata,"a",@progbits
	.p2align	6, 0x0
	.amdhsa_kernel TransformersAdamWContiguous
		.amdhsa_group_segment_fixed_size 0
		.amdhsa_private_segment_fixed_size 0
		.amdhsa_kernarg_size 344
		.amdhsa_user_sgpr_count 6
		.amdhsa_user_sgpr_private_segment_buffer 1
		.amdhsa_user_sgpr_dispatch_ptr 0
		.amdhsa_user_sgpr_queue_ptr 0
		.amdhsa_user_sgpr_kernarg_segment_ptr 1
		.amdhsa_user_sgpr_dispatch_id 0
		.amdhsa_user_sgpr_flat_scratch_init 0
		.amdhsa_user_sgpr_kernarg_preload_length 0
		.amdhsa_user_sgpr_kernarg_preload_offset 0
		.amdhsa_user_sgpr_private_segment_size 0
		.amdhsa_uses_dynamic_stack 0
		.amdhsa_system_sgpr_private_segment_wavefront_offset 0
		.amdhsa_system_sgpr_workgroup_id_x 1
		.amdhsa_system_sgpr_workgroup_id_y 0
		.amdhsa_system_sgpr_workgroup_id_z 0
		.amdhsa_system_sgpr_workgroup_info 0
		.amdhsa_system_vgpr_workitem_id 0
		.amdhsa_next_free_vgpr 33
		.amdhsa_next_free_sgpr 29
		.amdhsa_accum_offset 36
		.amdhsa_reserve_vcc 1
		.amdhsa_reserve_flat_scratch 0
		.amdhsa_float_round_mode_32 0
		.amdhsa_float_round_mode_16_64 0
		.amdhsa_float_denorm_mode_32 3
		.amdhsa_float_denorm_mode_16_64 3
		.amdhsa_dx10_clamp 1
		.amdhsa_ieee_mode 1
		.amdhsa_fp16_overflow 0
		.amdhsa_tg_split 0
		.amdhsa_exception_fp_ieee_invalid_op 0
		.amdhsa_exception_fp_denorm_src 0
		.amdhsa_exception_fp_ieee_div_zero 0
		.amdhsa_exception_fp_ieee_overflow 0
		.amdhsa_exception_fp_ieee_underflow 0
		.amdhsa_exception_fp_ieee_inexact 0
		.amdhsa_exception_int_div_zero 0
	.end_amdhsa_kernel
	.text
.Lfunc_end4:
	.size	TransformersAdamWContiguous, .Lfunc_end4-TransformersAdamWContiguous
                                        ; -- End function
	.section	.AMDGPU.csdata,"",@progbits
; Kernel info:
; codeLenInByte = 576
; NumSgprs: 33
; NumVgprs: 33
; NumAgprs: 0
; TotalNumVgprs: 33
; ScratchSize: 0
; MemoryBound: 0
; FloatMode: 240
; IeeeMode: 1
; LDSByteSize: 0 bytes/workgroup (compile time only)
; SGPRBlocks: 4
; VGPRBlocks: 4
; NumSGPRsForWavesPerEU: 33
; NumVGPRsForWavesPerEU: 33
; AccumOffset: 36
; Occupancy: 8
; WaveLimiterHint : 0
; COMPUTE_PGM_RSRC2:SCRATCH_EN: 0
; COMPUTE_PGM_RSRC2:USER_SGPR: 6
; COMPUTE_PGM_RSRC2:TRAP_HANDLER: 0
; COMPUTE_PGM_RSRC2:TGID_X_EN: 1
; COMPUTE_PGM_RSRC2:TGID_Y_EN: 0
; COMPUTE_PGM_RSRC2:TGID_Z_EN: 0
; COMPUTE_PGM_RSRC2:TIDIG_COMP_CNT: 0
; COMPUTE_PGM_RSRC3_GFX90A:ACCUM_OFFSET: 8
; COMPUTE_PGM_RSRC3_GFX90A:TG_SPLIT: 0
	.text
	.protected	TransformersAmpAdamWContiguous ; -- Begin function TransformersAmpAdamWContiguous
	.globl	TransformersAmpAdamWContiguous
	.p2align	8
	.type	TransformersAmpAdamWContiguous,@function
TransformersAmpAdamWContiguous:         ; @TransformersAmpAdamWContiguous
; %bb.0:
	s_load_dword s2, s[4:5], 0x7c
	s_load_dwordx2 s[34:35], s[4:5], 0x68
	s_add_u32 s0, s4, 0x70
	s_addc_u32 s1, s5, 0
	v_mov_b32_e32 v3, 0
	s_waitcnt lgkmcnt(0)
	s_and_b32 s33, s2, 0xffff
	s_mul_i32 s2, s6, s33
	v_add_u32_e32 v2, s2, v0
	v_cmp_gt_u64_e32 vcc, s[34:35], v[2:3]
	s_and_saveexec_b64 s[2:3], vcc
	s_cbranch_execz .LBB5_23
; %bb.1:
	s_load_dwordx4 s[28:31], s[4:5], 0x40
	s_load_dwordx16 s[12:27], s[4:5], 0x0
	s_load_dword s36, s[0:1], 0x0
	s_waitcnt lgkmcnt(0)
	s_cmp_eq_u64 s[30:31], 0
	s_cselect_b64 s[2:3], -1, 0
	s_and_b64 vcc, exec, s[2:3]
	s_cbranch_vccnz .LBB5_15
; %bb.2:
	v_mov_b32_e32 v1, 0
	global_load_ubyte v4, v1, s[30:31]
	s_waitcnt vmcnt(0)
	v_cmp_ne_u16_e32 vcc, 0, v4
	s_cbranch_vccz .LBB5_22
; %bb.3:
	s_cmp_lt_u32 s6, s36
	s_cselect_b32 s2, 12, 18
	s_add_u32 s0, s0, s2
	s_addc_u32 s1, s1, 0
	global_load_ushort v4, v1, s[0:1]
	s_waitcnt vmcnt(0)
	v_mul_lo_u32 v5, s6, v4
	v_add_u32_e32 v0, v5, v0
	v_cmp_gt_u64_e32 vcc, s[34:35], v[0:1]
	s_and_saveexec_b64 s[10:11], vcc
	s_cbranch_execz .LBB5_14
; %bb.4:
	s_cmp_lg_u64 s[12:13], s[14:15]
	v_lshlrev_b64 v[10:11], 1, v[0:1]
	v_mul_lo_u32 v4, s36, v4
	v_mov_b32_e32 v5, 0
	s_cselect_b64 s[0:1], -1, 0
	s_cmp_lg_u64 s[16:17], 0
	v_mov_b32_e32 v12, s17
	v_add_co_u32_e32 v10, vcc, s16, v10
	s_cselect_b64 s[2:3], -1, 0
	s_cmp_lg_u64 s[20:21], s[22:23]
	v_lshlrev_b64 v[8:9], 2, v[4:5]
	v_addc_co_u32_e32 v11, vcc, v12, v11, vcc
	v_lshlrev_b64 v[12:13], 1, v[4:5]
	v_cndmask_b32_e64 v5, 0, 1, s[0:1]
	s_cselect_b64 s[6:7], -1, 0
	s_cmp_lg_u64 s[24:25], s[26:27]
	v_cmp_ne_u32_e64 s[0:1], 1, v5
	v_cndmask_b32_e64 v5, 0, 1, s[2:3]
	v_cmp_ne_u32_e64 s[2:3], 1, v5
	v_cndmask_b32_e64 v5, 0, 1, s[6:7]
	s_cselect_b64 s[8:9], -1, 0
	v_cmp_ne_u32_e64 s[6:7], 1, v5
	v_cndmask_b32_e64 v5, 0, 1, s[8:9]
	s_mov_b64 s[30:31], 0
	v_lshlrev_b64 v[6:7], 2, v[0:1]
	v_cmp_ne_u32_e64 s[8:9], 1, v5
	s_branch .LBB5_6
.LBB5_5:                                ;   in Loop: Header=BB5_6 Depth=1
	v_add_co_u32_e32 v0, vcc, v0, v4
	v_addc_co_u32_e32 v1, vcc, 0, v1, vcc
	v_add_co_u32_e32 v6, vcc, v6, v8
	v_addc_co_u32_e32 v7, vcc, v7, v9, vcc
	v_cmp_le_u64_e32 vcc, s[34:35], v[0:1]
	s_or_b64 s[30:31], vcc, s[30:31]
	v_add_co_u32_e32 v10, vcc, v10, v12
	v_addc_co_u32_e32 v11, vcc, v11, v13, vcc
	s_andn2_b64 exec, exec, s[30:31]
	s_cbranch_execz .LBB5_14
.LBB5_6:                                ; =>This Inner Loop Header: Depth=1
	s_and_b64 vcc, exec, s[0:1]
	s_cbranch_vccnz .LBB5_8
; %bb.7:                                ;   in Loop: Header=BB5_6 Depth=1
	v_mov_b32_e32 v5, s13
	v_add_co_u32_e32 v14, vcc, s12, v6
	v_addc_co_u32_e32 v15, vcc, v5, v7, vcc
	global_load_dword v5, v[14:15], off
	v_mov_b32_e32 v15, s15
	v_add_co_u32_e32 v14, vcc, s14, v6
	v_addc_co_u32_e32 v15, vcc, v15, v7, vcc
	s_waitcnt vmcnt(0)
	global_store_dword v[14:15], v5, off
.LBB5_8:                                ;   in Loop: Header=BB5_6 Depth=1
	s_and_b64 vcc, exec, s[2:3]
	s_cbranch_vccnz .LBB5_10
; %bb.9:                                ;   in Loop: Header=BB5_6 Depth=1
	v_mov_b32_e32 v5, s13
	v_add_co_u32_e32 v14, vcc, s12, v6
	v_addc_co_u32_e32 v15, vcc, v5, v7, vcc
	global_load_dword v5, v[14:15], off
	s_waitcnt vmcnt(0)
	v_cvt_f16_f32_e32 v5, v5
	global_store_short v[10:11], v5, off
.LBB5_10:                               ;   in Loop: Header=BB5_6 Depth=1
	s_and_b64 vcc, exec, s[6:7]
	s_cbranch_vccnz .LBB5_12
; %bb.11:                               ;   in Loop: Header=BB5_6 Depth=1
	v_mov_b32_e32 v5, s21
	v_add_co_u32_e32 v14, vcc, s20, v6
	v_addc_co_u32_e32 v15, vcc, v5, v7, vcc
	global_load_dword v5, v[14:15], off
	v_mov_b32_e32 v15, s23
	v_add_co_u32_e32 v14, vcc, s22, v6
	v_addc_co_u32_e32 v15, vcc, v15, v7, vcc
	s_waitcnt vmcnt(0)
	global_store_dword v[14:15], v5, off
.LBB5_12:                               ;   in Loop: Header=BB5_6 Depth=1
	s_and_b64 vcc, exec, s[8:9]
	s_cbranch_vccnz .LBB5_5
; %bb.13:                               ;   in Loop: Header=BB5_6 Depth=1
	v_mov_b32_e32 v5, s25
	v_add_co_u32_e32 v14, vcc, s24, v6
	v_addc_co_u32_e32 v15, vcc, v5, v7, vcc
	global_load_dword v5, v[14:15], off
	v_mov_b32_e32 v15, s27
	v_add_co_u32_e32 v14, vcc, s26, v6
	v_addc_co_u32_e32 v15, vcc, v15, v7, vcc
	s_waitcnt vmcnt(0)
	global_store_dword v[14:15], v5, off
	s_branch .LBB5_5
.LBB5_14:
	s_or_b64 exec, exec, s[10:11]
	s_mov_b64 s[2:3], 0
.LBB5_15:
	s_and_b64 vcc, exec, s[2:3]
	s_cbranch_vccz .LBB5_23
.LBB5_16:
	s_cmp_eq_u64 s[28:29], 0
	s_cselect_b64 s[0:1], -1, 0
	s_mov_b64 s[6:7], 0
	s_and_b64 vcc, exec, s[0:1]
	v_mov_b32_e32 v8, 1.0
	s_cbranch_vccnz .LBB5_18
; %bb.17:
	s_load_dword s2, s[28:29], 0x0
	s_waitcnt lgkmcnt(0)
	v_cvt_f32_i32_e32 v8, s2
.LBB5_18:
	s_load_dwordx4 s[8:11], s[4:5], 0x50
	s_mul_i32 s28, s36, s33
	s_load_dword s33, s[4:5], 0x60
	s_cmp_lg_u64 s[16:17], 0
	s_mov_b32 s29, 0
	v_lshlrev_b64 v[0:1], 1, v[2:3]
	s_cselect_b64 s[2:3], -1, 0
	v_mov_b32_e32 v4, s17
	v_add_co_u32_e32 v0, vcc, s16, v0
	s_lshl_b64 s[16:17], s[28:29], 1
	s_lshl_b64 s[30:31], s[28:29], 2
	v_cndmask_b32_e64 v6, 0, 1, s[2:3]
	s_waitcnt lgkmcnt(0)
	v_sub_f32_e64 v9, 1.0, s8
	v_sub_f32_e64 v10, 1.0, s9
	v_addc_co_u32_e32 v1, vcc, v4, v1, vcc
	v_lshlrev_b64 v[4:5], 2, v[2:3]
	v_mov_b32_e32 v11, s19
	v_mov_b32_e32 v12, s13
	;; [unrolled: 1-line block ×4, first 2 shown]
	s_mov_b32 s13, 0xf800000
	v_mov_b32_e32 v15, 0x260
	v_mov_b32_e32 v16, s15
	;; [unrolled: 1-line block ×4, first 2 shown]
	v_cmp_ne_u32_e64 s[2:3], 1, v6
	v_mov_b32_e32 v19, s29
	v_mov_b32_e32 v20, s17
	;; [unrolled: 1-line block ×3, first 2 shown]
	s_branch .LBB5_20
.LBB5_19:                               ;   in Loop: Header=BB5_20 Depth=1
	v_add_co_u32_e32 v2, vcc, s28, v2
	v_addc_co_u32_e32 v3, vcc, v3, v19, vcc
	v_add_co_u32_e32 v0, vcc, s16, v0
	v_addc_co_u32_e32 v1, vcc, v1, v20, vcc
	v_cmp_le_u64_e32 vcc, s[34:35], v[2:3]
	s_or_b64 s[6:7], vcc, s[6:7]
	v_add_co_u32_e32 v4, vcc, s30, v4
	v_addc_co_u32_e32 v5, vcc, v5, v21, vcc
	s_andn2_b64 exec, exec, s[6:7]
	s_cbranch_execz .LBB5_23
.LBB5_20:                               ; =>This Inner Loop Header: Depth=1
	v_add_co_u32_e32 v6, vcc, s18, v4
	v_addc_co_u32_e32 v7, vcc, v11, v5, vcc
	global_load_dword v22, v[6:7], off
	v_add_co_u32_e32 v6, vcc, s24, v4
	v_addc_co_u32_e32 v7, vcc, v14, v5, vcc
	global_load_dword v24, v[6:7], off
	v_add_co_u32_e32 v6, vcc, s20, v4
	v_addc_co_u32_e32 v7, vcc, v13, v5, vcc
	global_load_dword v26, v[6:7], off
	v_add_co_u32_e32 v6, vcc, s12, v4
	v_addc_co_u32_e32 v7, vcc, v12, v5, vcc
	global_load_dword v28, v[6:7], off
	v_add_co_u32_e32 v6, vcc, s14, v4
	v_addc_co_u32_e32 v7, vcc, v16, v5, vcc
	v_mov_b32_e32 v23, s10
	s_waitcnt vmcnt(3)
	v_div_scale_f32 v25, s[4:5], v8, v8, v22
	v_rcp_f32_e32 v27, v25
	v_div_scale_f32 v29, vcc, v22, v8, v22
	s_waitcnt vmcnt(2)
	v_mul_f32_e32 v30, s9, v24
	v_fma_f32 v24, -v25, v27, 1.0
	v_fmac_f32_e32 v27, v24, v27
	v_mul_f32_e32 v24, v29, v27
	v_fma_f32 v31, -v25, v24, v29
	v_fmac_f32_e32 v24, v31, v27
	v_fma_f32 v25, -v25, v24, v29
	v_div_fmas_f32 v24, v25, v27, v24
	v_div_fixup_f32 v24, v24, v8, v22
	v_cndmask_b32_e64 v27, v24, v22, s[0:1]
	v_mul_f32_e32 v22, v27, v27
	v_fmac_f32_e32 v30, v10, v22
	v_mul_f32_e32 v22, 0x4f800000, v30
	v_cmp_gt_f32_e32 vcc, s13, v30
	v_cndmask_b32_e32 v29, v30, v22, vcc
	v_sqrt_f32_e32 v31, v29
	v_add_co_u32_e64 v24, s[4:5], s22, v4
	s_waitcnt vmcnt(1)
	v_mul_f32_e32 v22, s8, v26
	v_mul_f32_e32 v26, v9, v27
	v_add_u32_e32 v27, -1, v31
	v_addc_co_u32_e64 v25, s[4:5], v17, v5, s[4:5]
	v_add_u32_e32 v32, 1, v31
	v_fma_f32 v33, -v27, v31, v29
	v_fma_f32 v34, -v32, v31, v29
	v_cmp_ge_f32_e64 s[4:5], 0, v33
	v_cndmask_b32_e64 v27, v31, v27, s[4:5]
	v_cmp_lt_f32_e64 s[4:5], 0, v34
	v_cndmask_b32_e64 v27, v27, v32, s[4:5]
	v_mul_f32_e32 v31, 0x37800000, v27
	v_cndmask_b32_e32 v27, v27, v31, vcc
	v_cmp_class_f32_e32 vcc, v29, v15
	v_cndmask_b32_e32 v27, v27, v29, vcc
	v_pk_add_f32 v[22:23], v[26:27], v[22:23]
	v_mul_f32_e32 v29, s33, v22
	v_div_scale_f32 v31, s[4:5], v23, v23, v29
	v_rcp_f32_e32 v32, v31
	v_add_co_u32_e32 v26, vcc, s26, v4
	v_addc_co_u32_e32 v27, vcc, v18, v5, vcc
	v_fma_f32 v34, -v31, v32, 1.0
	v_div_scale_f32 v33, vcc, v29, v23, v29
	v_fmac_f32_e32 v32, v34, v32
	v_mul_f32_e32 v34, v33, v32
	v_fma_f32 v35, -v31, v34, v33
	v_fmac_f32_e32 v34, v35, v32
	v_fma_f32 v31, -v31, v34, v33
	v_div_fmas_f32 v31, v31, v32, v34
	v_div_fixup_f32 v23, v31, v23, v29
	s_waitcnt vmcnt(0)
	v_sub_f32_e32 v23, v28, v23
	s_and_b64 vcc, exec, s[2:3]
	v_fma_f32 v23, -v23, s11, v23
	global_store_dword v[6:7], v23, off
	global_store_dword v[24:25], v22, off
	;; [unrolled: 1-line block ×3, first 2 shown]
	s_cbranch_vccnz .LBB5_19
; %bb.21:                               ;   in Loop: Header=BB5_20 Depth=1
	global_load_dword v6, v[6:7], off
	s_waitcnt vmcnt(0)
	v_cvt_f16_f32_e32 v6, v6
	global_store_short v[0:1], v6, off
	s_branch .LBB5_19
.LBB5_22:
	s_cbranch_execnz .LBB5_16
.LBB5_23:
	s_endpgm
	.section	.rodata,"a",@progbits
	.p2align	6, 0x0
	.amdhsa_kernel TransformersAmpAdamWContiguous
		.amdhsa_group_segment_fixed_size 0
		.amdhsa_private_segment_fixed_size 0
		.amdhsa_kernarg_size 368
		.amdhsa_user_sgpr_count 6
		.amdhsa_user_sgpr_private_segment_buffer 1
		.amdhsa_user_sgpr_dispatch_ptr 0
		.amdhsa_user_sgpr_queue_ptr 0
		.amdhsa_user_sgpr_kernarg_segment_ptr 1
		.amdhsa_user_sgpr_dispatch_id 0
		.amdhsa_user_sgpr_flat_scratch_init 0
		.amdhsa_user_sgpr_kernarg_preload_length 0
		.amdhsa_user_sgpr_kernarg_preload_offset 0
		.amdhsa_user_sgpr_private_segment_size 0
		.amdhsa_uses_dynamic_stack 0
		.amdhsa_system_sgpr_private_segment_wavefront_offset 0
		.amdhsa_system_sgpr_workgroup_id_x 1
		.amdhsa_system_sgpr_workgroup_id_y 0
		.amdhsa_system_sgpr_workgroup_id_z 0
		.amdhsa_system_sgpr_workgroup_info 0
		.amdhsa_system_vgpr_workitem_id 0
		.amdhsa_next_free_vgpr 36
		.amdhsa_next_free_sgpr 37
		.amdhsa_accum_offset 36
		.amdhsa_reserve_vcc 1
		.amdhsa_reserve_flat_scratch 0
		.amdhsa_float_round_mode_32 0
		.amdhsa_float_round_mode_16_64 0
		.amdhsa_float_denorm_mode_32 3
		.amdhsa_float_denorm_mode_16_64 3
		.amdhsa_dx10_clamp 1
		.amdhsa_ieee_mode 1
		.amdhsa_fp16_overflow 0
		.amdhsa_tg_split 0
		.amdhsa_exception_fp_ieee_invalid_op 0
		.amdhsa_exception_fp_denorm_src 0
		.amdhsa_exception_fp_ieee_div_zero 0
		.amdhsa_exception_fp_ieee_overflow 0
		.amdhsa_exception_fp_ieee_underflow 0
		.amdhsa_exception_fp_ieee_inexact 0
		.amdhsa_exception_int_div_zero 0
	.end_amdhsa_kernel
	.text
.Lfunc_end5:
	.size	TransformersAmpAdamWContiguous, .Lfunc_end5-TransformersAmpAdamWContiguous
                                        ; -- End function
	.section	.AMDGPU.csdata,"",@progbits
; Kernel info:
; codeLenInByte = 1324
; NumSgprs: 41
; NumVgprs: 36
; NumAgprs: 0
; TotalNumVgprs: 36
; ScratchSize: 0
; MemoryBound: 0
; FloatMode: 240
; IeeeMode: 1
; LDSByteSize: 0 bytes/workgroup (compile time only)
; SGPRBlocks: 5
; VGPRBlocks: 4
; NumSGPRsForWavesPerEU: 41
; NumVGPRsForWavesPerEU: 36
; AccumOffset: 36
; Occupancy: 8
; WaveLimiterHint : 0
; COMPUTE_PGM_RSRC2:SCRATCH_EN: 0
; COMPUTE_PGM_RSRC2:USER_SGPR: 6
; COMPUTE_PGM_RSRC2:TRAP_HANDLER: 0
; COMPUTE_PGM_RSRC2:TGID_X_EN: 1
; COMPUTE_PGM_RSRC2:TGID_Y_EN: 0
; COMPUTE_PGM_RSRC2:TGID_Z_EN: 0
; COMPUTE_PGM_RSRC2:TIDIG_COMP_CNT: 0
; COMPUTE_PGM_RSRC3_GFX90A:ACCUM_OFFSET: 8
; COMPUTE_PGM_RSRC3_GFX90A:TG_SPLIT: 0
	.text
	.protected	TransformersAmpAdamWContiguousWithStep ; -- Begin function TransformersAmpAdamWContiguousWithStep
	.globl	TransformersAmpAdamWContiguousWithStep
	.p2align	8
	.type	TransformersAmpAdamWContiguousWithStep,@function
TransformersAmpAdamWContiguousWithStep: ; @TransformersAmpAdamWContiguousWithStep
; %bb.0:
	s_load_dword s2, s[4:5], 0x8c
	s_load_dwordx2 s[10:11], s[4:5], 0x78
	s_add_u32 s0, s4, 0x80
	s_addc_u32 s1, s5, 0
	v_mov_b32_e32 v3, 0
	s_waitcnt lgkmcnt(0)
	s_and_b32 s33, s2, 0xffff
	s_mul_i32 s2, s6, s33
	v_add_u32_e32 v2, s2, v0
	v_cmp_gt_u64_e32 vcc, s[10:11], v[2:3]
	s_and_saveexec_b64 s[2:3], vcc
	s_cbranch_execz .LBB6_26
; %bb.1:
	s_load_dwordx4 s[28:31], s[4:5], 0x40
	s_load_dwordx16 s[12:27], s[4:5], 0x0
	s_load_dword s90, s[0:1], 0x0
	s_waitcnt lgkmcnt(0)
	s_cmp_eq_u64 s[30:31], 0
	s_cselect_b64 s[2:3], -1, 0
	s_and_b64 vcc, exec, s[2:3]
	s_cbranch_vccnz .LBB6_15
; %bb.2:
	v_mov_b32_e32 v1, 0
	global_load_ubyte v4, v1, s[30:31]
	s_waitcnt vmcnt(0)
	v_cmp_ne_u16_e32 vcc, 0, v4
	s_cbranch_vccz .LBB6_25
; %bb.3:
	s_cmp_lt_u32 s6, s90
	s_cselect_b32 s2, 12, 18
	s_add_u32 s0, s0, s2
	s_addc_u32 s1, s1, 0
	global_load_ushort v4, v1, s[0:1]
	s_waitcnt vmcnt(0)
	v_mul_lo_u32 v5, s6, v4
	v_add_u32_e32 v0, v5, v0
	v_cmp_gt_u64_e32 vcc, s[10:11], v[0:1]
	s_and_saveexec_b64 s[30:31], vcc
	s_cbranch_execz .LBB6_14
; %bb.4:
	s_cmp_lg_u64 s[12:13], s[14:15]
	v_lshlrev_b64 v[10:11], 1, v[0:1]
	v_mul_lo_u32 v4, s90, v4
	v_mov_b32_e32 v5, 0
	s_cselect_b64 s[0:1], -1, 0
	s_cmp_lg_u64 s[16:17], 0
	v_mov_b32_e32 v12, s17
	v_add_co_u32_e32 v10, vcc, s16, v10
	s_cselect_b64 s[2:3], -1, 0
	s_cmp_lg_u64 s[20:21], s[22:23]
	v_lshlrev_b64 v[8:9], 2, v[4:5]
	v_addc_co_u32_e32 v11, vcc, v12, v11, vcc
	v_lshlrev_b64 v[12:13], 1, v[4:5]
	v_cndmask_b32_e64 v5, 0, 1, s[0:1]
	s_cselect_b64 s[6:7], -1, 0
	s_cmp_lg_u64 s[24:25], s[26:27]
	v_cmp_ne_u32_e64 s[0:1], 1, v5
	v_cndmask_b32_e64 v5, 0, 1, s[2:3]
	v_cmp_ne_u32_e64 s[2:3], 1, v5
	v_cndmask_b32_e64 v5, 0, 1, s[6:7]
	s_cselect_b64 s[8:9], -1, 0
	v_cmp_ne_u32_e64 s[6:7], 1, v5
	v_cndmask_b32_e64 v5, 0, 1, s[8:9]
	s_mov_b64 s[34:35], 0
	v_lshlrev_b64 v[6:7], 2, v[0:1]
	v_cmp_ne_u32_e64 s[8:9], 1, v5
	s_branch .LBB6_6
.LBB6_5:                                ;   in Loop: Header=BB6_6 Depth=1
	v_add_co_u32_e32 v0, vcc, v0, v4
	v_addc_co_u32_e32 v1, vcc, 0, v1, vcc
	v_add_co_u32_e32 v6, vcc, v6, v8
	v_addc_co_u32_e32 v7, vcc, v7, v9, vcc
	v_cmp_le_u64_e32 vcc, s[10:11], v[0:1]
	s_or_b64 s[34:35], vcc, s[34:35]
	v_add_co_u32_e32 v10, vcc, v10, v12
	v_addc_co_u32_e32 v11, vcc, v11, v13, vcc
	s_andn2_b64 exec, exec, s[34:35]
	s_cbranch_execz .LBB6_14
.LBB6_6:                                ; =>This Inner Loop Header: Depth=1
	s_and_b64 vcc, exec, s[0:1]
	s_cbranch_vccnz .LBB6_8
; %bb.7:                                ;   in Loop: Header=BB6_6 Depth=1
	v_mov_b32_e32 v5, s13
	v_add_co_u32_e32 v14, vcc, s12, v6
	v_addc_co_u32_e32 v15, vcc, v5, v7, vcc
	global_load_dword v5, v[14:15], off
	v_mov_b32_e32 v15, s15
	v_add_co_u32_e32 v14, vcc, s14, v6
	v_addc_co_u32_e32 v15, vcc, v15, v7, vcc
	s_waitcnt vmcnt(0)
	global_store_dword v[14:15], v5, off
.LBB6_8:                                ;   in Loop: Header=BB6_6 Depth=1
	s_and_b64 vcc, exec, s[2:3]
	s_cbranch_vccnz .LBB6_10
; %bb.9:                                ;   in Loop: Header=BB6_6 Depth=1
	v_mov_b32_e32 v5, s13
	v_add_co_u32_e32 v14, vcc, s12, v6
	v_addc_co_u32_e32 v15, vcc, v5, v7, vcc
	global_load_dword v5, v[14:15], off
	s_waitcnt vmcnt(0)
	v_cvt_f16_f32_e32 v5, v5
	global_store_short v[10:11], v5, off
.LBB6_10:                               ;   in Loop: Header=BB6_6 Depth=1
	s_and_b64 vcc, exec, s[6:7]
	s_cbranch_vccnz .LBB6_12
; %bb.11:                               ;   in Loop: Header=BB6_6 Depth=1
	v_mov_b32_e32 v5, s21
	v_add_co_u32_e32 v14, vcc, s20, v6
	v_addc_co_u32_e32 v15, vcc, v5, v7, vcc
	global_load_dword v5, v[14:15], off
	v_mov_b32_e32 v15, s23
	v_add_co_u32_e32 v14, vcc, s22, v6
	v_addc_co_u32_e32 v15, vcc, v15, v7, vcc
	s_waitcnt vmcnt(0)
	global_store_dword v[14:15], v5, off
.LBB6_12:                               ;   in Loop: Header=BB6_6 Depth=1
	s_and_b64 vcc, exec, s[8:9]
	s_cbranch_vccnz .LBB6_5
; %bb.13:                               ;   in Loop: Header=BB6_6 Depth=1
	v_mov_b32_e32 v5, s25
	v_add_co_u32_e32 v14, vcc, s24, v6
	v_addc_co_u32_e32 v15, vcc, v5, v7, vcc
	global_load_dword v5, v[14:15], off
	v_mov_b32_e32 v15, s27
	v_add_co_u32_e32 v14, vcc, s26, v6
	v_addc_co_u32_e32 v15, vcc, v15, v7, vcc
	s_waitcnt vmcnt(0)
	global_store_dword v[14:15], v5, off
	s_branch .LBB6_5
.LBB6_14:
	s_or_b64 exec, exec, s[30:31]
	s_mov_b64 s[2:3], 0
.LBB6_15:
	s_and_b64 vcc, exec, s[2:3]
	s_cbranch_vccz .LBB6_26
.LBB6_16:
	s_load_dwordx2 s[8:9], s[4:5], 0x50
	s_cmp_eq_u64 s[28:29], 0
	s_cselect_b64 s[0:1], -1, 0
	s_and_b64 vcc, exec, s[0:1]
	v_mov_b32_e32 v14, 1.0
	s_cbranch_vccnz .LBB6_18
; %bb.17:
	s_load_dword s2, s[28:29], 0x0
	s_waitcnt lgkmcnt(0)
	v_cvt_f32_i32_e32 v14, s2
.LBB6_18:
	s_load_dwordx8 s[36:43], s[4:5], 0x58
	s_mov_b32 s7, 0
	s_waitcnt lgkmcnt(0)
	s_bitcmp1_b32 s42, 0
	v_cmp_lt_f32_e64 s[2:3], s41, 0
	s_cselect_b64 s[4:5], -1, 0
	s_and_b64 s[4:5], s[2:3], s[4:5]
	s_andn2_b64 vcc, exec, s[4:5]
	s_cbranch_vccnz .LBB6_20
; %bb.19:
	s_load_dword s2, s[8:9], 0x0
	v_mov_b32_e32 v15, 0x3ff00000
	v_cmp_neq_f32_e64 vcc, s37, 1.0
	v_cvt_f64_f32_e32 v[0:1], s37
	s_mov_b32 s8, 0x55555555
	s_waitcnt lgkmcnt(0)
	s_add_i32 s2, s2, 1
	v_cvt_f64_u32_e32 v[4:5], s2
	v_cndmask_b32_e32 v9, v15, v5, vcc
	v_cndmask_b32_e32 v8, 0, v4, vcc
	v_cmp_neq_f64_e32 vcc, 0, v[8:9]
	v_cndmask_b32_e32 v1, v15, v1, vcc
	v_cndmask_b32_e32 v0, 0, v0, vcc
	v_frexp_mant_f64_e64 v[6:7], |v[0:1]|
	s_mov_b32 s9, 0x3fe55555
	v_frexp_exp_i32_f64_e32 v10, v[0:1]
	v_cmp_gt_f64_e32 vcc, s[8:9], v[6:7]
	v_subbrev_co_u32_e64 v24, s[2:3], 0, v10, vcc
	s_and_b64 s[2:3], vcc, exec
	s_cselect_b32 s3, 2.0, 0x3ff00000
	s_mov_b32 s2, s7
	v_mul_f64 v[6:7], v[6:7], s[2:3]
	v_add_f64 v[10:11], v[6:7], 1.0
	v_rcp_f64_e32 v[12:13], v[10:11]
	v_add_f64 v[18:19], v[10:11], -1.0
	v_add_f64 v[16:17], v[6:7], -1.0
	v_add_f64 v[6:7], v[6:7], -v[18:19]
	v_fma_f64 v[18:19], -v[10:11], v[12:13], 1.0
	v_fmac_f64_e32 v[12:13], v[18:19], v[12:13]
	v_fma_f64 v[18:19], -v[10:11], v[12:13], 1.0
	v_fmac_f64_e32 v[12:13], v[18:19], v[12:13]
	v_mul_f64 v[18:19], v[16:17], v[12:13]
	v_mul_f64 v[20:21], v[10:11], v[18:19]
	v_fma_f64 v[10:11], v[18:19], v[10:11], -v[20:21]
	v_fmac_f64_e32 v[10:11], v[18:19], v[6:7]
	v_add_f64 v[6:7], v[20:21], v[10:11]
	v_add_f64 v[22:23], v[16:17], -v[6:7]
	v_add_f64 v[20:21], v[6:7], -v[20:21]
	;; [unrolled: 1-line block ×5, first 2 shown]
	v_add_f64 v[6:7], v[10:11], v[6:7]
	v_add_f64 v[6:7], v[22:23], v[6:7]
	v_mul_f64 v[6:7], v[12:13], v[6:7]
	v_add_f64 v[10:11], v[18:19], v[6:7]
	v_add_f64 v[12:13], v[10:11], -v[18:19]
	v_add_f64 v[12:13], v[6:7], -v[12:13]
	v_mul_f64 v[6:7], v[10:11], v[10:11]
	v_fma_f64 v[16:17], v[10:11], v[10:11], -v[6:7]
	v_add_f64 v[18:19], v[12:13], v[12:13]
	v_fmac_f64_e32 v[16:17], v[10:11], v[18:19]
	v_add_f64 v[18:19], v[6:7], v[16:17]
	s_mov_b32 s2, 0x968915a9
	v_add_f64 v[6:7], v[18:19], -v[6:7]
	s_mov_b32 s3, 0x3fba6564
	s_mov_b32 s28, 0x4222de17
	v_add_f64 v[16:17], v[16:17], -v[6:7]
	s_mov_b32 s29, 0x3fbdee67
	v_pk_mov_b32 v[6:7], s[2:3], s[2:3] op_sel:[0,1]
	s_mov_b32 s30, 0x3abe935a
	v_fma_f64 v[20:21], s[28:29], v[18:19], v[6:7]
	s_mov_b32 s31, 0x3fbe25e4
	s_mov_b32 s34, 0x47e6c9c2
	;; [unrolled: 1-line block ×3, first 2 shown]
	v_fma_f64 v[20:21], v[18:19], v[20:21], s[30:31]
	s_mov_b32 s35, 0x3fc110ef
	s_mov_b32 s42, 0xcfa74449
	v_cvt_f64_i32_e32 v[22:23], v24
	s_mov_b32 s55, 0x3fe62e42
	v_fma_f64 v[20:21], v[18:19], v[20:21], s[34:35]
	s_mov_b32 s43, 0x3fc3b13b
	s_mov_b32 s44, 0x71bf3c30
	v_mul_f64 v[24:25], v[22:23], s[54:55]
	s_mov_b32 s56, 0x3b39803f
	v_fma_f64 v[20:21], v[18:19], v[20:21], s[42:43]
	s_mov_b32 s45, 0x3fc745d1
	s_mov_b32 s48, 0x1c7792ce
	v_fma_f64 v[26:27], v[22:23], s[54:55], -v[24:25]
	s_mov_b32 s57, 0x3c7abc9e
	v_mul_f64 v[30:31], v[10:11], v[18:19]
	v_fma_f64 v[20:21], v[18:19], v[20:21], s[44:45]
	s_mov_b32 s49, 0x3fcc71c7
	s_mov_b32 s50, 0x924920da
	v_fmac_f64_e32 v[26:27], s[56:57], v[22:23]
	v_fma_f64 v[32:33], v[18:19], v[10:11], -v[30:31]
	v_fma_f64 v[20:21], v[18:19], v[20:21], s[48:49]
	s_mov_b32 s51, 0x3fd24924
	s_mov_b32 s52, 0x9999999c
	v_add_f64 v[22:23], v[24:25], v[26:27]
	v_fmac_f64_e32 v[32:33], v[18:19], v[12:13]
	v_fma_f64 v[20:21], v[18:19], v[20:21], s[50:51]
	s_mov_b32 s53, 0x3fd99999
	v_add_f64 v[24:25], v[22:23], -v[24:25]
	v_fmac_f64_e32 v[32:33], v[16:17], v[10:11]
	v_fma_f64 v[20:21], v[18:19], v[20:21], s[52:53]
	v_add_f64 v[24:25], v[26:27], -v[24:25]
	v_ldexp_f64 v[26:27], v[10:11], 1
	v_add_f64 v[10:11], v[30:31], v[32:33]
	v_ldexp_f64 v[28:29], v[12:13], 1
	v_add_f64 v[12:13], v[10:11], -v[30:31]
	v_mul_f64 v[30:31], v[18:19], v[20:21]
	v_fma_f64 v[18:19], v[18:19], v[20:21], -v[30:31]
	v_fmac_f64_e32 v[18:19], v[16:17], v[20:21]
	v_add_f64 v[16:17], v[30:31], v[18:19]
	v_add_f64 v[20:21], v[16:17], -v[30:31]
	v_add_f64 v[18:19], v[18:19], -v[20:21]
	v_add_f64 v[20:21], v[16:17], s[8:9]
	s_mov_b32 s59, 0xbfe55555
	s_mov_b32 s58, s8
	;; [unrolled: 1-line block ×3, first 2 shown]
	v_add_f64 v[30:31], v[20:21], s[58:59]
	s_mov_b32 s61, 0x3c8543b0
	v_add_f64 v[16:17], v[16:17], -v[30:31]
	v_add_f64 v[18:19], v[18:19], s[60:61]
	v_add_f64 v[16:17], v[18:19], v[16:17]
	;; [unrolled: 1-line block ×3, first 2 shown]
	v_add_f64 v[20:21], v[20:21], -v[18:19]
	v_add_f64 v[16:17], v[16:17], v[20:21]
	v_mul_f64 v[20:21], v[10:11], v[18:19]
	v_fma_f64 v[30:31], v[10:11], v[18:19], -v[20:21]
	v_add_f64 v[12:13], v[32:33], -v[12:13]
	v_fmac_f64_e32 v[30:31], v[10:11], v[16:17]
	v_fmac_f64_e32 v[30:31], v[12:13], v[18:19]
	v_add_f64 v[10:11], v[20:21], v[30:31]
	v_add_f64 v[12:13], v[10:11], -v[20:21]
	v_add_f64 v[16:17], v[26:27], v[10:11]
	v_add_f64 v[12:13], v[30:31], -v[12:13]
	v_add_f64 v[18:19], v[16:17], -v[26:27]
	;; [unrolled: 1-line block ×3, first 2 shown]
	v_add_f64 v[12:13], v[28:29], v[12:13]
	v_add_f64 v[10:11], v[12:13], v[10:11]
	;; [unrolled: 1-line block ×3, first 2 shown]
	v_add_f64 v[16:17], v[12:13], -v[16:17]
	v_add_f64 v[10:11], v[10:11], -v[16:17]
	v_add_f64 v[16:17], v[22:23], v[12:13]
	v_add_f64 v[18:19], v[16:17], -v[22:23]
	v_add_f64 v[20:21], v[16:17], -v[18:19]
	;; [unrolled: 1-line block ×4, first 2 shown]
	v_add_f64 v[12:13], v[12:13], v[20:21]
	v_add_f64 v[18:19], v[24:25], v[10:11]
	v_add_f64 v[20:21], v[18:19], -v[24:25]
	v_add_f64 v[12:13], v[18:19], v[12:13]
	v_add_f64 v[22:23], v[18:19], -v[20:21]
	;; [unrolled: 2-line block ×3, first 2 shown]
	v_add_f64 v[10:11], v[10:11], -v[20:21]
	v_add_f64 v[16:17], v[18:19], -v[16:17]
	v_add_f64 v[10:11], v[10:11], v[22:23]
	v_add_f64 v[12:13], v[12:13], -v[16:17]
	v_add_f64 v[10:11], v[10:11], v[12:13]
	v_add_f64 v[12:13], v[18:19], v[10:11]
	v_add_f64 v[16:17], v[12:13], -v[18:19]
	v_add_f64 v[10:11], v[10:11], -v[16:17]
	v_mul_f64 v[16:17], v[8:9], v[12:13]
	v_fma_f64 v[12:13], v[8:9], v[12:13], -v[16:17]
	v_fmac_f64_e32 v[12:13], v[8:9], v[10:11]
	s_movk_i32 s6, 0x204
	v_add_f64 v[10:11], v[16:17], v[12:13]
	v_cmp_class_f64_e64 vcc, v[16:17], s6
	s_mov_b32 s62, 0x652b82fe
	v_add_f64 v[18:19], v[10:11], -v[16:17]
	v_cndmask_b32_e32 v17, v11, v17, vcc
	v_cndmask_b32_e32 v16, v10, v16, vcc
	s_mov_b32 s63, 0x3ff71547
	v_mul_f64 v[10:11], v[16:17], s[62:63]
	v_add_f64 v[12:13], v[12:13], -v[18:19]
	v_rndne_f64_e32 v[18:19], v[10:11]
	s_mov_b32 s65, 0xbfe62e42
	s_mov_b32 s64, s54
	;; [unrolled: 1-line block ×3, first 2 shown]
	v_fma_f64 v[20:21], s[64:65], v[18:19], v[16:17]
	s_mov_b32 s67, 0xbc7abc9e
	s_mov_b32 s66, s56
	;; [unrolled: 1-line block ×4, first 2 shown]
	v_fmac_f64_e32 v[20:21], s[66:67], v[18:19]
	s_mov_b32 s69, 0x3e5ade15
	v_pk_mov_b32 v[10:11], s[2:3], s[2:3] op_sel:[0,1]
	s_mov_b32 s70, 0x623fde64
	v_fma_f64 v[22:23], s[68:69], v[20:21], v[10:11]
	s_mov_b32 s71, 0x3ec71dee
	s_mov_b32 s72, 0x7c89e6b0
	v_fma_f64 v[22:23], v[20:21], v[22:23], s[70:71]
	s_mov_b32 s73, 0x3efa0199
	;; [unrolled: 3-line block ×9, first 2 shown]
	v_fma_f64 v[22:23], v[20:21], v[22:23], 1.0
	s_mov_b32 s86, 0
	v_cmp_neq_f64_e64 vcc, |v[16:17]|, s[46:47]
	v_fma_f64 v[20:21], v[20:21], v[22:23], 1.0
	v_cvt_i32_f64_e32 v18, v[18:19]
	s_mov_b32 s87, 0x40900000
	s_mov_b32 s88, 0
	v_cndmask_b32_e32 v13, 0, v13, vcc
	v_cndmask_b32_e32 v12, 0, v12, vcc
	v_ldexp_f64 v[18:19], v[20:21], v18
	v_cmp_lt_f64_e32 vcc, s[86:87], v[16:17]
	v_mov_b32_e32 v38, 0x7ff00000
	s_mov_b32 s89, 0xc090cc00
	v_cndmask_b32_e64 v20, v18, 0, vcc
	v_cndmask_b32_e32 v21, v19, v38, vcc
	v_cmp_ngt_f64_e64 s[2:3], s[88:89], v[16:17]
	v_and_b32_e32 v19, 0x7fffffff, v19
	v_cndmask_b32_e64 v17, 0, v21, s[2:3]
	v_cndmask_b32_e64 v16, 0, v20, s[2:3]
	v_cmp_eq_f64_e64 s[4:5], s[46:47], v[18:19]
	v_pk_mov_b32 v[20:21], v[16:17], v[16:17] op_sel:[0,1]
	s_or_b64 s[4:5], vcc, s[4:5]
	v_fmac_f64_e32 v[20:21], v[20:21], v[12:13]
	s_and_b64 vcc, s[2:3], s[4:5]
	v_cndmask_b32_e32 v20, v20, v16, vcc
	v_cndmask_b32_e32 v21, v21, v17, vcc
	v_mul_f64 v[16:17], v[8:9], 0.5
	v_trunc_f64_e32 v[12:13], v[8:9]
	v_trunc_f64_e32 v[18:19], v[16:17]
	v_cmp_neq_f64_e32 vcc, v[18:19], v[16:17]
	v_cmp_eq_f64_e64 s[2:3], v[12:13], v[8:9]
	s_and_b64 vcc, s[2:3], vcc
	s_brev_b32 s41, -2
	v_cndmask_b32_e32 v9, v15, v1, vcc
	v_bfi_b32 v9, s41, v21, v9
	v_mov_b32_e32 v16, 0x7ff80000
	v_cndmask_b32_e64 v8, 0, v20, s[2:3]
	v_cndmask_b32_e64 v12, v16, v9, s[2:3]
	v_cmp_gt_f64_e64 s[2:3], 0, v[0:1]
	v_cndmask_b32_e64 v9, v9, v12, s[2:3]
	v_cndmask_b32_e64 v8, v20, v8, s[2:3]
	v_cmp_class_f64_e64 s[4:5], v[0:1], s6
	v_cmp_eq_f64_e64 s[2:3], 0, v[0:1]
	s_or_b64 s[4:5], s[4:5], s[2:3]
	s_and_b64 s[2:3], s[2:3], exec
	s_cselect_b32 s2, 0, 0x7ff00000
	v_cndmask_b32_e32 v12, 0, v1, vcc
	v_mov_b32_e32 v13, s2
	v_bfi_b32 v12, s41, v13, v12
	v_cmp_neq_f32_e64 vcc, s38, 1.0
	v_cndmask_b32_e64 v9, v9, v12, s[4:5]
	v_cndmask_b32_e32 v13, v15, v5, vcc
	v_cndmask_b32_e32 v12, 0, v4, vcc
	v_cvt_f64_f32_e32 v[18:19], s38
	v_cmp_neq_f64_e32 vcc, 0, v[12:13]
	v_cndmask_b32_e32 v5, v15, v19, vcc
	v_cndmask_b32_e32 v4, 0, v18, vcc
	v_frexp_mant_f64_e64 v[18:19], |v[4:5]|
	v_frexp_exp_i32_f64_e32 v17, v[4:5]
	v_cmp_gt_f64_e32 vcc, s[8:9], v[18:19]
	v_subbrev_co_u32_e64 v17, s[2:3], 0, v17, vcc
	s_and_b64 s[2:3], vcc, exec
	s_cselect_b32 s3, 2.0, 0x3ff00000
	s_mov_b32 s2, s7
	v_mul_f64 v[18:19], v[18:19], s[2:3]
	v_add_f64 v[20:21], v[18:19], 1.0
	v_rcp_f64_e32 v[22:23], v[20:21]
	v_add_f64 v[26:27], v[20:21], -1.0
	v_add_f64 v[24:25], v[18:19], -1.0
	v_add_f64 v[18:19], v[18:19], -v[26:27]
	v_fma_f64 v[26:27], -v[20:21], v[22:23], 1.0
	v_fmac_f64_e32 v[22:23], v[26:27], v[22:23]
	v_fma_f64 v[26:27], -v[20:21], v[22:23], 1.0
	v_fmac_f64_e32 v[22:23], v[26:27], v[22:23]
	v_mul_f64 v[26:27], v[24:25], v[22:23]
	v_mul_f64 v[28:29], v[20:21], v[26:27]
	v_fma_f64 v[20:21], v[26:27], v[20:21], -v[28:29]
	v_fmac_f64_e32 v[20:21], v[26:27], v[18:19]
	v_add_f64 v[18:19], v[28:29], v[20:21]
	v_add_f64 v[30:31], v[24:25], -v[18:19]
	v_add_f64 v[28:29], v[18:19], -v[28:29]
	;; [unrolled: 1-line block ×5, first 2 shown]
	v_add_f64 v[18:19], v[20:21], v[18:19]
	v_add_f64 v[18:19], v[30:31], v[18:19]
	v_mul_f64 v[18:19], v[22:23], v[18:19]
	v_add_f64 v[20:21], v[26:27], v[18:19]
	v_add_f64 v[22:23], v[20:21], -v[26:27]
	v_add_f64 v[18:19], v[18:19], -v[22:23]
	v_mul_f64 v[22:23], v[20:21], v[20:21]
	v_fma_f64 v[24:25], v[20:21], v[20:21], -v[22:23]
	v_add_f64 v[26:27], v[18:19], v[18:19]
	v_fmac_f64_e32 v[24:25], v[20:21], v[26:27]
	v_add_f64 v[26:27], v[22:23], v[24:25]
	v_fmac_f64_e32 v[6:7], s[28:29], v[26:27]
	v_add_f64 v[22:23], v[26:27], -v[22:23]
	v_fma_f64 v[6:7], v[26:27], v[6:7], s[30:31]
	v_add_f64 v[22:23], v[24:25], -v[22:23]
	v_fma_f64 v[6:7], v[26:27], v[6:7], s[34:35]
	v_cvt_f64_i32_e32 v[24:25], v17
	v_fma_f64 v[6:7], v[26:27], v[6:7], s[42:43]
	v_mul_f64 v[28:29], v[24:25], s[54:55]
	v_mul_f64 v[34:35], v[20:21], v[26:27]
	v_fma_f64 v[6:7], v[26:27], v[6:7], s[44:45]
	v_fma_f64 v[30:31], v[24:25], s[54:55], -v[28:29]
	v_fma_f64 v[36:37], v[26:27], v[20:21], -v[34:35]
	v_fma_f64 v[6:7], v[26:27], v[6:7], s[48:49]
	v_fmac_f64_e32 v[30:31], s[56:57], v[24:25]
	v_fmac_f64_e32 v[36:37], v[26:27], v[18:19]
	v_fma_f64 v[6:7], v[26:27], v[6:7], s[50:51]
	v_add_f64 v[24:25], v[28:29], v[30:31]
	v_fmac_f64_e32 v[36:37], v[22:23], v[20:21]
	v_fma_f64 v[6:7], v[26:27], v[6:7], s[52:53]
	v_add_f64 v[28:29], v[24:25], -v[28:29]
	v_ldexp_f64 v[32:33], v[18:19], 1
	v_add_f64 v[18:19], v[34:35], v[36:37]
	v_add_f64 v[28:29], v[30:31], -v[28:29]
	v_ldexp_f64 v[30:31], v[20:21], 1
	v_add_f64 v[20:21], v[18:19], -v[34:35]
	v_mul_f64 v[34:35], v[26:27], v[6:7]
	v_fma_f64 v[26:27], v[26:27], v[6:7], -v[34:35]
	v_fmac_f64_e32 v[26:27], v[22:23], v[6:7]
	v_add_f64 v[6:7], v[34:35], v[26:27]
	v_add_f64 v[22:23], v[6:7], -v[34:35]
	v_add_f64 v[22:23], v[26:27], -v[22:23]
	v_add_f64 v[26:27], v[6:7], s[8:9]
	v_add_f64 v[34:35], v[26:27], s[58:59]
	v_add_f64 v[6:7], v[6:7], -v[34:35]
	v_add_f64 v[22:23], v[22:23], s[60:61]
	v_add_f64 v[6:7], v[22:23], v[6:7]
	;; [unrolled: 1-line block ×3, first 2 shown]
	v_add_f64 v[26:27], v[26:27], -v[22:23]
	v_add_f64 v[6:7], v[6:7], v[26:27]
	v_mul_f64 v[26:27], v[18:19], v[22:23]
	v_fma_f64 v[34:35], v[18:19], v[22:23], -v[26:27]
	v_add_f64 v[20:21], v[36:37], -v[20:21]
	v_fmac_f64_e32 v[34:35], v[18:19], v[6:7]
	v_fmac_f64_e32 v[34:35], v[20:21], v[22:23]
	v_add_f64 v[6:7], v[26:27], v[34:35]
	v_add_f64 v[18:19], v[6:7], -v[26:27]
	v_add_f64 v[20:21], v[30:31], v[6:7]
	v_add_f64 v[18:19], v[34:35], -v[18:19]
	v_add_f64 v[22:23], v[20:21], -v[30:31]
	;; [unrolled: 1-line block ×3, first 2 shown]
	v_add_f64 v[18:19], v[32:33], v[18:19]
	v_add_f64 v[6:7], v[18:19], v[6:7]
	;; [unrolled: 1-line block ×3, first 2 shown]
	v_add_f64 v[20:21], v[18:19], -v[20:21]
	v_add_f64 v[6:7], v[6:7], -v[20:21]
	v_add_f64 v[20:21], v[24:25], v[18:19]
	v_add_f64 v[22:23], v[20:21], -v[24:25]
	v_add_f64 v[26:27], v[20:21], -v[22:23]
	;; [unrolled: 1-line block ×4, first 2 shown]
	v_add_f64 v[18:19], v[18:19], v[24:25]
	v_add_f64 v[22:23], v[28:29], v[6:7]
	v_add_f64 v[24:25], v[22:23], -v[28:29]
	v_add_f64 v[18:19], v[22:23], v[18:19]
	v_add_f64 v[26:27], v[22:23], -v[24:25]
	v_add_f64 v[22:23], v[20:21], v[18:19]
	v_add_f64 v[26:27], v[28:29], -v[26:27]
	v_add_f64 v[6:7], v[6:7], -v[24:25]
	v_add_f64 v[20:21], v[22:23], -v[20:21]
	v_add_f64 v[6:7], v[6:7], v[26:27]
	v_add_f64 v[18:19], v[18:19], -v[20:21]
	v_add_f64 v[6:7], v[6:7], v[18:19]
	v_add_f64 v[18:19], v[22:23], v[6:7]
	v_add_f64 v[20:21], v[18:19], -v[22:23]
	v_add_f64 v[6:7], v[6:7], -v[20:21]
	v_mul_f64 v[20:21], v[12:13], v[18:19]
	v_fma_f64 v[18:19], v[12:13], v[18:19], -v[20:21]
	v_fmac_f64_e32 v[18:19], v[12:13], v[6:7]
	v_add_f64 v[6:7], v[20:21], v[18:19]
	v_cmp_class_f64_e64 vcc, v[20:21], s6
	v_add_f64 v[22:23], v[6:7], -v[20:21]
	v_cndmask_b32_e32 v7, v7, v21, vcc
	v_cndmask_b32_e32 v6, v6, v20, vcc
	v_mul_f64 v[20:21], v[6:7], s[62:63]
	v_rndne_f64_e32 v[20:21], v[20:21]
	v_add_f64 v[18:19], v[18:19], -v[22:23]
	v_fma_f64 v[22:23], s[64:65], v[20:21], v[6:7]
	v_fmac_f64_e32 v[22:23], s[66:67], v[20:21]
	v_fmac_f64_e32 v[10:11], s[68:69], v[22:23]
	v_fma_f64 v[10:11], v[22:23], v[10:11], s[70:71]
	v_fma_f64 v[10:11], v[22:23], v[10:11], s[72:73]
	;; [unrolled: 1-line block ×8, first 2 shown]
	v_fma_f64 v[10:11], v[22:23], v[10:11], 1.0
	v_cmp_neq_f64_e64 vcc, |v[6:7]|, s[46:47]
	v_fma_f64 v[10:11], v[22:23], v[10:11], 1.0
	v_cvt_i32_f64_e32 v17, v[20:21]
	v_cndmask_b32_e32 v19, 0, v19, vcc
	v_cndmask_b32_e32 v18, 0, v18, vcc
	v_ldexp_f64 v[10:11], v[10:11], v17
	v_cmp_lt_f64_e32 vcc, s[86:87], v[6:7]
	v_cndmask_b32_e64 v17, v10, 0, vcc
	v_cndmask_b32_e32 v20, v11, v38, vcc
	v_cmp_ngt_f64_e64 s[2:3], s[88:89], v[6:7]
	v_and_b32_e32 v11, 0x7fffffff, v11
	v_cndmask_b32_e64 v8, v8, 0, s[4:5]
	v_cndmask_b32_e64 v7, 0, v20, s[2:3]
	;; [unrolled: 1-line block ×3, first 2 shown]
	v_cmp_eq_f64_e64 s[4:5], s[46:47], v[10:11]
	v_pk_mov_b32 v[20:21], v[6:7], v[6:7] op_sel:[0,1]
	s_or_b64 s[4:5], vcc, s[4:5]
	v_fmac_f64_e32 v[20:21], v[20:21], v[18:19]
	s_and_b64 vcc, s[2:3], s[4:5]
	v_mul_f64 v[10:11], v[12:13], 0.5
	v_cndmask_b32_e32 v17, v20, v6, vcc
	v_cndmask_b32_e32 v20, v21, v7, vcc
	v_trunc_f64_e32 v[6:7], v[12:13]
	v_trunc_f64_e32 v[18:19], v[10:11]
	v_cmp_neq_f64_e32 vcc, v[18:19], v[10:11]
	v_cmp_eq_f64_e64 s[2:3], v[6:7], v[12:13]
	s_and_b64 vcc, s[2:3], vcc
	v_cndmask_b32_e32 v7, v15, v5, vcc
	v_bfi_b32 v7, s41, v20, v7
	v_cndmask_b32_e64 v6, 0, v17, s[2:3]
	v_cndmask_b32_e64 v10, v16, v7, s[2:3]
	v_cmp_gt_f64_e64 s[2:3], 0, v[4:5]
	v_cndmask_b32_e64 v7, v7, v10, s[2:3]
	v_cndmask_b32_e64 v6, v17, v6, s[2:3]
	v_cmp_class_f64_e64 s[4:5], v[4:5], s6
	v_cmp_eq_f64_e64 s[2:3], 0, v[4:5]
	s_or_b64 s[4:5], s[4:5], s[2:3]
	s_and_b64 s[2:3], s[2:3], exec
	s_cselect_b32 s2, 0, 0x7ff00000
	v_cndmask_b32_e32 v10, 0, v5, vcc
	v_mov_b32_e32 v11, s2
	v_bfi_b32 v10, s41, v11, v10
	v_cndmask_b32_e64 v6, v6, 0, s[4:5]
	v_cndmask_b32_e64 v7, v7, v10, s[4:5]
	v_add_f64 v[6:7], -v[6:7], 1.0
	v_cmp_o_f64_e32 vcc, v[4:5], v[4:5]
	v_cndmask_b32_e32 v5, v16, v7, vcc
	v_cndmask_b32_e32 v4, 0, v6, vcc
	v_cvt_f32_f64_e32 v4, v[4:5]
	s_mov_b32 s2, 0xf800000
	v_mul_f32_e32 v5, 0x4f800000, v4
	v_cmp_gt_f32_e32 vcc, s2, v4
	v_cndmask_b32_e32 v4, v4, v5, vcc
	v_sqrt_f32_e32 v5, v4
	v_add_f64 v[8:9], -v[8:9], 1.0
	v_cmp_o_f64_e64 s[2:3], v[0:1], v[0:1]
	v_cndmask_b32_e64 v1, v16, v9, s[2:3]
	v_cndmask_b32_e64 v0, 0, v8, s[2:3]
	v_cvt_f32_f64_e32 v0, v[0:1]
	v_add_u32_e32 v1, -1, v5
	v_fma_f32 v6, -v1, v5, v4
	v_cmp_ge_f32_e64 s[2:3], 0, v6
	v_add_u32_e32 v6, 1, v5
	v_cndmask_b32_e64 v1, v5, v1, s[2:3]
	v_fma_f32 v5, -v6, v5, v4
	v_cmp_lt_f32_e64 s[2:3], 0, v5
	v_cndmask_b32_e64 v1, v1, v6, s[2:3]
	v_mul_f32_e32 v5, 0x37800000, v1
	v_cndmask_b32_e32 v1, v1, v5, vcc
	v_mov_b32_e32 v5, 0x260
	v_cmp_class_f32_e32 vcc, v4, v5
	v_cndmask_b32_e32 v1, v1, v4, vcc
	v_mul_f32_e32 v1, s36, v1
	v_div_scale_f32 v4, s[2:3], v0, v0, v1
	v_rcp_f32_e32 v5, v4
	v_fma_f32 v6, -v4, v5, 1.0
	v_fmac_f32_e32 v5, v6, v5
	v_div_scale_f32 v6, vcc, v1, v0, v1
	v_mul_f32_e32 v7, v6, v5
	v_fma_f32 v8, -v4, v7, v6
	v_fmac_f32_e32 v7, v8, v5
	v_fma_f32 v4, -v4, v7, v6
	v_div_fmas_f32 v4, v4, v5, v7
	v_div_fixup_f32 v8, v4, v0, v1
	s_branch .LBB6_21
.LBB6_20:
	v_mov_b32_e32 v0, s41
	v_mov_b32_e32 v1, s36
	v_cndmask_b32_e64 v8, v0, v1, s[2:3]
.LBB6_21:
	s_cmp_lg_u64 s[16:17], 0
	s_mul_i32 s6, s90, s33
	v_lshlrev_b64 v[0:1], 1, v[2:3]
	s_cselect_b64 s[2:3], -1, 0
	v_mov_b32_e32 v4, s17
	v_add_co_u32_e32 v0, vcc, s16, v0
	s_lshl_b64 s[16:17], s[6:7], 1
	s_lshl_b64 s[28:29], s[6:7], 2
	v_cndmask_b32_e64 v6, 0, 1, s[2:3]
	v_sub_f32_e64 v9, 1.0, s37
	v_sub_f32_e64 v10, 1.0, s38
	s_mov_b64 s[8:9], 0
	v_addc_co_u32_e32 v1, vcc, v4, v1, vcc
	v_lshlrev_b64 v[4:5], 2, v[2:3]
	v_mov_b32_e32 v11, s19
	v_mov_b32_e32 v12, s13
	;; [unrolled: 1-line block ×4, first 2 shown]
	s_mov_b32 s13, 0xf800000
	v_mov_b32_e32 v16, 0x260
	v_mov_b32_e32 v17, s15
	;; [unrolled: 1-line block ×4, first 2 shown]
	v_cmp_ne_u32_e64 s[2:3], 1, v6
	v_mov_b32_e32 v20, s7
	v_mov_b32_e32 v21, s17
	;; [unrolled: 1-line block ×3, first 2 shown]
	s_branch .LBB6_23
.LBB6_22:                               ;   in Loop: Header=BB6_23 Depth=1
	v_add_co_u32_e32 v2, vcc, s6, v2
	v_addc_co_u32_e32 v3, vcc, v3, v20, vcc
	v_add_co_u32_e32 v0, vcc, s16, v0
	v_addc_co_u32_e32 v1, vcc, v1, v21, vcc
	v_cmp_le_u64_e32 vcc, s[10:11], v[2:3]
	s_or_b64 s[8:9], vcc, s[8:9]
	v_add_co_u32_e32 v4, vcc, s28, v4
	v_addc_co_u32_e32 v5, vcc, v5, v22, vcc
	s_andn2_b64 exec, exec, s[8:9]
	s_cbranch_execz .LBB6_26
.LBB6_23:                               ; =>This Inner Loop Header: Depth=1
	v_add_co_u32_e32 v6, vcc, s18, v4
	v_addc_co_u32_e32 v7, vcc, v11, v5, vcc
	global_load_dword v23, v[6:7], off
	v_add_co_u32_e32 v6, vcc, s24, v4
	v_addc_co_u32_e32 v7, vcc, v15, v5, vcc
	global_load_dword v24, v[6:7], off
	v_add_co_u32_e32 v6, vcc, s20, v4
	v_addc_co_u32_e32 v7, vcc, v13, v5, vcc
	global_load_dword v28, v[6:7], off
	v_add_co_u32_e32 v6, vcc, s12, v4
	v_addc_co_u32_e32 v7, vcc, v12, v5, vcc
	global_load_dword v30, v[6:7], off
	v_add_co_u32_e32 v6, vcc, s14, v4
	v_addc_co_u32_e32 v7, vcc, v17, v5, vcc
	v_mov_b32_e32 v25, s39
	s_waitcnt vmcnt(3)
	v_div_scale_f32 v26, s[4:5], v14, v14, v23
	v_rcp_f32_e32 v27, v26
	v_div_scale_f32 v29, vcc, v23, v14, v23
	s_waitcnt vmcnt(2)
	v_mul_f32_e32 v31, s38, v24
	v_fma_f32 v24, -v26, v27, 1.0
	v_fmac_f32_e32 v27, v24, v27
	v_mul_f32_e32 v24, v29, v27
	v_fma_f32 v32, -v26, v24, v29
	v_fmac_f32_e32 v24, v32, v27
	v_fma_f32 v26, -v26, v24, v29
	v_div_fmas_f32 v24, v26, v27, v24
	v_div_fixup_f32 v24, v24, v14, v23
	v_cndmask_b32_e64 v23, v24, v23, s[0:1]
	v_mul_f32_e32 v24, v23, v23
	v_fmac_f32_e32 v31, v10, v24
	v_mul_f32_e32 v24, 0x4f800000, v31
	v_cmp_gt_f32_e32 vcc, s13, v31
	v_cndmask_b32_e32 v29, v31, v24, vcc
	v_sqrt_f32_e32 v32, v29
	v_add_co_u32_e64 v26, s[4:5], s22, v4
	s_waitcnt vmcnt(1)
	v_mul_f32_e32 v24, s37, v28
	v_mul_f32_e32 v28, v9, v23
	v_add_u32_e32 v23, -1, v32
	v_addc_co_u32_e64 v27, s[4:5], v18, v5, s[4:5]
	v_add_u32_e32 v33, 1, v32
	v_fma_f32 v34, -v23, v32, v29
	v_fma_f32 v35, -v33, v32, v29
	v_cmp_ge_f32_e64 s[4:5], 0, v34
	v_cndmask_b32_e64 v23, v32, v23, s[4:5]
	v_cmp_lt_f32_e64 s[4:5], 0, v35
	v_cndmask_b32_e64 v23, v23, v33, s[4:5]
	v_mul_f32_e32 v32, 0x37800000, v23
	v_cndmask_b32_e32 v23, v23, v32, vcc
	v_cmp_class_f32_e32 vcc, v29, v16
	v_cndmask_b32_e32 v29, v23, v29, vcc
	v_pk_add_f32 v[24:25], v[28:29], v[24:25]
	v_mul_f32_e32 v23, v8, v24
	v_div_scale_f32 v32, s[4:5], v25, v25, v23
	v_rcp_f32_e32 v33, v32
	v_add_co_u32_e32 v28, vcc, s26, v4
	v_addc_co_u32_e32 v29, vcc, v19, v5, vcc
	v_fma_f32 v35, -v32, v33, 1.0
	v_div_scale_f32 v34, vcc, v23, v25, v23
	v_fmac_f32_e32 v33, v35, v33
	v_mul_f32_e32 v35, v34, v33
	v_fma_f32 v36, -v32, v35, v34
	v_fmac_f32_e32 v35, v36, v33
	v_fma_f32 v32, -v32, v35, v34
	v_div_fmas_f32 v32, v32, v33, v35
	v_div_fixup_f32 v23, v32, v25, v23
	s_waitcnt vmcnt(0)
	v_sub_f32_e32 v23, v30, v23
	s_and_b64 vcc, exec, s[2:3]
	v_fma_f32 v23, -v23, s40, v23
	global_store_dword v[6:7], v23, off
	global_store_dword v[26:27], v24, off
	;; [unrolled: 1-line block ×3, first 2 shown]
	s_cbranch_vccnz .LBB6_22
; %bb.24:                               ;   in Loop: Header=BB6_23 Depth=1
	global_load_dword v6, v[6:7], off
	s_waitcnt vmcnt(0)
	v_cvt_f16_f32_e32 v6, v6
	global_store_short v[0:1], v6, off
	s_branch .LBB6_22
.LBB6_25:
	s_cbranch_execnz .LBB6_16
.LBB6_26:
	s_endpgm
	.section	.rodata,"a",@progbits
	.p2align	6, 0x0
	.amdhsa_kernel TransformersAmpAdamWContiguousWithStep
		.amdhsa_group_segment_fixed_size 0
		.amdhsa_private_segment_fixed_size 0
		.amdhsa_kernarg_size 384
		.amdhsa_user_sgpr_count 6
		.amdhsa_user_sgpr_private_segment_buffer 1
		.amdhsa_user_sgpr_dispatch_ptr 0
		.amdhsa_user_sgpr_queue_ptr 0
		.amdhsa_user_sgpr_kernarg_segment_ptr 1
		.amdhsa_user_sgpr_dispatch_id 0
		.amdhsa_user_sgpr_flat_scratch_init 0
		.amdhsa_user_sgpr_kernarg_preload_length 0
		.amdhsa_user_sgpr_kernarg_preload_offset 0
		.amdhsa_user_sgpr_private_segment_size 0
		.amdhsa_uses_dynamic_stack 0
		.amdhsa_system_sgpr_private_segment_wavefront_offset 0
		.amdhsa_system_sgpr_workgroup_id_x 1
		.amdhsa_system_sgpr_workgroup_id_y 0
		.amdhsa_system_sgpr_workgroup_id_z 0
		.amdhsa_system_sgpr_workgroup_info 0
		.amdhsa_system_vgpr_workitem_id 0
		.amdhsa_next_free_vgpr 39
		.amdhsa_next_free_sgpr 91
		.amdhsa_accum_offset 40
		.amdhsa_reserve_vcc 1
		.amdhsa_reserve_flat_scratch 0
		.amdhsa_float_round_mode_32 0
		.amdhsa_float_round_mode_16_64 0
		.amdhsa_float_denorm_mode_32 3
		.amdhsa_float_denorm_mode_16_64 3
		.amdhsa_dx10_clamp 1
		.amdhsa_ieee_mode 1
		.amdhsa_fp16_overflow 0
		.amdhsa_tg_split 0
		.amdhsa_exception_fp_ieee_invalid_op 0
		.amdhsa_exception_fp_denorm_src 0
		.amdhsa_exception_fp_ieee_div_zero 0
		.amdhsa_exception_fp_ieee_overflow 0
		.amdhsa_exception_fp_ieee_underflow 0
		.amdhsa_exception_fp_ieee_inexact 0
		.amdhsa_exception_int_div_zero 0
	.end_amdhsa_kernel
	.text
.Lfunc_end6:
	.size	TransformersAmpAdamWContiguousWithStep, .Lfunc_end6-TransformersAmpAdamWContiguousWithStep
                                        ; -- End function
	.section	.AMDGPU.csdata,"",@progbits
; Kernel info:
; codeLenInByte = 4740
; NumSgprs: 95
; NumVgprs: 39
; NumAgprs: 0
; TotalNumVgprs: 39
; ScratchSize: 0
; MemoryBound: 0
; FloatMode: 240
; IeeeMode: 1
; LDSByteSize: 0 bytes/workgroup (compile time only)
; SGPRBlocks: 11
; VGPRBlocks: 4
; NumSGPRsForWavesPerEU: 95
; NumVGPRsForWavesPerEU: 39
; AccumOffset: 40
; Occupancy: 8
; WaveLimiterHint : 0
; COMPUTE_PGM_RSRC2:SCRATCH_EN: 0
; COMPUTE_PGM_RSRC2:USER_SGPR: 6
; COMPUTE_PGM_RSRC2:TRAP_HANDLER: 0
; COMPUTE_PGM_RSRC2:TGID_X_EN: 1
; COMPUTE_PGM_RSRC2:TGID_Y_EN: 0
; COMPUTE_PGM_RSRC2:TGID_Z_EN: 0
; COMPUTE_PGM_RSRC2:TIDIG_COMP_CNT: 0
; COMPUTE_PGM_RSRC3_GFX90A:ACCUM_OFFSET: 9
; COMPUTE_PGM_RSRC3_GFX90A:TG_SPLIT: 0
	.text
	.p2alignl 6, 3212836864
	.fill 256, 4, 3212836864
	.type	__hip_cuid_171f2812a7beaa59,@object ; @__hip_cuid_171f2812a7beaa59
	.section	.bss,"aw",@nobits
	.globl	__hip_cuid_171f2812a7beaa59
__hip_cuid_171f2812a7beaa59:
	.byte	0                               ; 0x0
	.size	__hip_cuid_171f2812a7beaa59, 1

	.ident	"AMD clang version 19.0.0git (https://github.com/RadeonOpenCompute/llvm-project roc-6.4.0 25133 c7fe45cf4b819c5991fe208aaa96edf142730f1d)"
	.section	".note.GNU-stack","",@progbits
	.addrsig
	.addrsig_sym __hip_cuid_171f2812a7beaa59
	.amdgpu_metadata
---
amdhsa.kernels:
  - .agpr_count:     0
    .args:
      - .address_space:  global
        .offset:         0
        .size:           8
        .value_kind:     global_buffer
      - .address_space:  global
        .offset:         8
        .size:           8
        .value_kind:     global_buffer
      - .address_space:  global
        .offset:         16
        .size:           8
        .value_kind:     global_buffer
      - .address_space:  global
        .offset:         24
        .size:           8
        .value_kind:     global_buffer
      - .address_space:  global
        .offset:         32
        .size:           8
        .value_kind:     global_buffer
      - .address_space:  global
        .offset:         40
        .size:           8
        .value_kind:     global_buffer
      - .address_space:  global
        .offset:         48
        .size:           8
        .value_kind:     global_buffer
      - .address_space:  global
        .offset:         56
        .size:           8
        .value_kind:     global_buffer
      - .address_space:  global
        .offset:         64
        .size:           8
        .value_kind:     global_buffer
      - .offset:         72
        .size:           4
        .value_kind:     by_value
      - .offset:         76
        .size:           4
        .value_kind:     by_value
      - .offset:         80
        .size:           4
        .value_kind:     by_value
      - .offset:         84
        .size:           4
        .value_kind:     by_value
      - .offset:         88
        .size:           4
        .value_kind:     by_value
      - .offset:         92
        .size:           4
        .value_kind:     by_value
      - .offset:         96
        .size:           1
        .value_kind:     by_value
      - .offset:         97
        .size:           1
        .value_kind:     by_value
      - .offset:         98
        .size:           1
        .value_kind:     by_value
      - .offset:         104
        .size:           8
        .value_kind:     by_value
      - .offset:         112
        .size:           4
        .value_kind:     hidden_block_count_x
      - .offset:         116
        .size:           4
        .value_kind:     hidden_block_count_y
      - .offset:         120
        .size:           4
        .value_kind:     hidden_block_count_z
      - .offset:         124
        .size:           2
        .value_kind:     hidden_group_size_x
      - .offset:         126
        .size:           2
        .value_kind:     hidden_group_size_y
      - .offset:         128
        .size:           2
        .value_kind:     hidden_group_size_z
      - .offset:         130
        .size:           2
        .value_kind:     hidden_remainder_x
      - .offset:         132
        .size:           2
        .value_kind:     hidden_remainder_y
      - .offset:         134
        .size:           2
        .value_kind:     hidden_remainder_z
      - .offset:         152
        .size:           8
        .value_kind:     hidden_global_offset_x
      - .offset:         160
        .size:           8
        .value_kind:     hidden_global_offset_y
      - .offset:         168
        .size:           8
        .value_kind:     hidden_global_offset_z
      - .offset:         176
        .size:           2
        .value_kind:     hidden_grid_dims
    .group_segment_fixed_size: 0
    .kernarg_segment_align: 8
    .kernarg_segment_size: 368
    .language:       OpenCL C
    .language_version:
      - 2
      - 0
    .max_flat_workgroup_size: 1024
    .name:           AdamContiguous
    .private_segment_fixed_size: 0
    .sgpr_count:     88
    .sgpr_spill_count: 0
    .symbol:         AdamContiguous.kd
    .uniform_work_group_size: 1
    .uses_dynamic_stack: false
    .vgpr_count:     44
    .vgpr_spill_count: 0
    .wavefront_size: 64
  - .agpr_count:     0
    .args:
      - .address_space:  global
        .offset:         0
        .size:           8
        .value_kind:     global_buffer
      - .address_space:  global
        .offset:         8
        .size:           8
        .value_kind:     global_buffer
      - .address_space:  global
        .offset:         16
        .size:           8
        .value_kind:     global_buffer
      - .address_space:  global
        .offset:         24
        .size:           8
        .value_kind:     global_buffer
      - .address_space:  global
        .offset:         32
        .size:           8
        .value_kind:     global_buffer
      - .address_space:  global
        .offset:         40
        .size:           8
        .value_kind:     global_buffer
      - .address_space:  global
        .offset:         48
        .size:           8
        .value_kind:     global_buffer
      - .address_space:  global
        .offset:         56
        .size:           8
        .value_kind:     global_buffer
      - .address_space:  global
        .offset:         64
        .size:           8
        .value_kind:     global_buffer
      - .address_space:  global
        .offset:         72
        .size:           8
        .value_kind:     global_buffer
      - .address_space:  global
        .offset:         80
        .size:           8
        .value_kind:     global_buffer
      - .address_space:  global
        .offset:         88
        .size:           8
        .value_kind:     global_buffer
      - .address_space:  global
        .offset:         96
        .size:           8
        .value_kind:     global_buffer
      - .offset:         104
        .size:           4
        .value_kind:     by_value
      - .offset:         108
        .size:           4
        .value_kind:     by_value
      - .offset:         112
        .size:           4
        .value_kind:     by_value
      - .offset:         116
        .size:           4
        .value_kind:     by_value
      - .offset:         120
        .size:           4
        .value_kind:     by_value
      - .offset:         124
        .size:           1
        .value_kind:     by_value
      - .offset:         125
        .size:           1
        .value_kind:     by_value
      - .offset:         126
        .size:           1
        .value_kind:     by_value
      - .offset:         128
        .size:           8
        .value_kind:     by_value
      - .offset:         136
        .size:           4
        .value_kind:     hidden_block_count_x
      - .offset:         140
        .size:           4
        .value_kind:     hidden_block_count_y
      - .offset:         144
        .size:           4
        .value_kind:     hidden_block_count_z
      - .offset:         148
        .size:           2
        .value_kind:     hidden_group_size_x
      - .offset:         150
        .size:           2
        .value_kind:     hidden_group_size_y
      - .offset:         152
        .size:           2
        .value_kind:     hidden_group_size_z
      - .offset:         154
        .size:           2
        .value_kind:     hidden_remainder_x
      - .offset:         156
        .size:           2
        .value_kind:     hidden_remainder_y
      - .offset:         158
        .size:           2
        .value_kind:     hidden_remainder_z
      - .offset:         176
        .size:           8
        .value_kind:     hidden_global_offset_x
      - .offset:         184
        .size:           8
        .value_kind:     hidden_global_offset_y
      - .offset:         192
        .size:           8
        .value_kind:     hidden_global_offset_z
      - .offset:         200
        .size:           2
        .value_kind:     hidden_grid_dims
    .group_segment_fixed_size: 0
    .kernarg_segment_align: 8
    .kernarg_segment_size: 392
    .language:       OpenCL C
    .language_version:
      - 2
      - 0
    .max_flat_workgroup_size: 1024
    .name:           AmpAdamContiguousWithStep
    .private_segment_fixed_size: 0
    .sgpr_count:     100
    .sgpr_spill_count: 0
    .symbol:         AmpAdamContiguousWithStep.kd
    .uniform_work_group_size: 1
    .uses_dynamic_stack: false
    .vgpr_count:     43
    .vgpr_spill_count: 0
    .wavefront_size: 64
  - .agpr_count:     0
    .args:
      - .address_space:  global
        .offset:         0
        .size:           8
        .value_kind:     global_buffer
      - .address_space:  global
        .offset:         8
        .size:           8
        .value_kind:     global_buffer
      - .address_space:  global
        .offset:         16
        .size:           8
        .value_kind:     global_buffer
      - .address_space:  global
        .offset:         24
        .size:           8
        .value_kind:     global_buffer
      - .address_space:  global
        .offset:         32
        .size:           8
        .value_kind:     global_buffer
      - .address_space:  global
        .offset:         40
        .size:           8
        .value_kind:     global_buffer
      - .address_space:  global
        .offset:         48
        .size:           8
        .value_kind:     global_buffer
      - .address_space:  global
        .offset:         56
        .size:           8
        .value_kind:     global_buffer
      - .address_space:  global
        .offset:         64
        .size:           8
        .value_kind:     global_buffer
      - .address_space:  global
        .offset:         72
        .size:           8
        .value_kind:     global_buffer
      - .address_space:  global
        .offset:         80
        .size:           8
        .value_kind:     global_buffer
      - .address_space:  global
        .offset:         88
        .size:           8
        .value_kind:     global_buffer
      - .offset:         96
        .size:           4
        .value_kind:     by_value
      - .offset:         100
        .size:           4
        .value_kind:     by_value
      - .offset:         104
        .size:           4
        .value_kind:     by_value
      - .offset:         108
        .size:           4
        .value_kind:     by_value
      - .offset:         112
        .size:           4
        .value_kind:     by_value
      - .offset:         116
        .size:           4
        .value_kind:     by_value
      - .offset:         120
        .size:           1
        .value_kind:     by_value
      - .offset:         121
        .size:           1
        .value_kind:     by_value
      - .offset:         122
        .size:           1
        .value_kind:     by_value
      - .offset:         128
        .size:           8
        .value_kind:     by_value
      - .offset:         136
        .size:           4
        .value_kind:     hidden_block_count_x
      - .offset:         140
        .size:           4
        .value_kind:     hidden_block_count_y
      - .offset:         144
        .size:           4
        .value_kind:     hidden_block_count_z
      - .offset:         148
        .size:           2
        .value_kind:     hidden_group_size_x
      - .offset:         150
        .size:           2
        .value_kind:     hidden_group_size_y
      - .offset:         152
        .size:           2
        .value_kind:     hidden_group_size_z
      - .offset:         154
        .size:           2
        .value_kind:     hidden_remainder_x
      - .offset:         156
        .size:           2
        .value_kind:     hidden_remainder_y
      - .offset:         158
        .size:           2
        .value_kind:     hidden_remainder_z
      - .offset:         176
        .size:           8
        .value_kind:     hidden_global_offset_x
      - .offset:         184
        .size:           8
        .value_kind:     hidden_global_offset_y
      - .offset:         192
        .size:           8
        .value_kind:     hidden_global_offset_z
      - .offset:         200
        .size:           2
        .value_kind:     hidden_grid_dims
    .group_segment_fixed_size: 0
    .kernarg_segment_align: 8
    .kernarg_segment_size: 392
    .language:       OpenCL C
    .language_version:
      - 2
      - 0
    .max_flat_workgroup_size: 1024
    .name:           AmpAdamContiguous
    .private_segment_fixed_size: 0
    .sgpr_count:     100
    .sgpr_spill_count: 0
    .symbol:         AmpAdamContiguous.kd
    .uniform_work_group_size: 1
    .uses_dynamic_stack: false
    .vgpr_count:     42
    .vgpr_spill_count: 0
    .wavefront_size: 64
  - .agpr_count:     0
    .args:
      - .address_space:  global
        .offset:         0
        .size:           8
        .value_kind:     global_buffer
      - .address_space:  global
        .offset:         8
        .size:           8
        .value_kind:     global_buffer
      - .address_space:  global
        .offset:         16
        .size:           8
        .value_kind:     global_buffer
      - .offset:         24
        .size:           4
        .value_kind:     hidden_block_count_x
      - .offset:         28
        .size:           4
        .value_kind:     hidden_block_count_y
      - .offset:         32
        .size:           4
        .value_kind:     hidden_block_count_z
      - .offset:         36
        .size:           2
        .value_kind:     hidden_group_size_x
      - .offset:         38
        .size:           2
        .value_kind:     hidden_group_size_y
      - .offset:         40
        .size:           2
        .value_kind:     hidden_group_size_z
      - .offset:         42
        .size:           2
        .value_kind:     hidden_remainder_x
      - .offset:         44
        .size:           2
        .value_kind:     hidden_remainder_y
      - .offset:         46
        .size:           2
        .value_kind:     hidden_remainder_z
      - .offset:         64
        .size:           8
        .value_kind:     hidden_global_offset_x
      - .offset:         72
        .size:           8
        .value_kind:     hidden_global_offset_y
      - .offset:         80
        .size:           8
        .value_kind:     hidden_global_offset_z
      - .offset:         88
        .size:           2
        .value_kind:     hidden_grid_dims
    .group_segment_fixed_size: 0
    .kernarg_segment_align: 8
    .kernarg_segment_size: 280
    .language:       OpenCL C
    .language_version:
      - 2
      - 0
    .max_flat_workgroup_size: 1024
    .name:           AdamUpdateStep
    .private_segment_fixed_size: 0
    .sgpr_count:     14
    .sgpr_spill_count: 0
    .symbol:         AdamUpdateStep.kd
    .uniform_work_group_size: 1
    .uses_dynamic_stack: false
    .vgpr_count:     2
    .vgpr_spill_count: 0
    .wavefront_size: 64
  - .agpr_count:     0
    .args:
      - .address_space:  global
        .offset:         0
        .size:           8
        .value_kind:     global_buffer
      - .address_space:  global
        .offset:         8
        .size:           8
        .value_kind:     global_buffer
      - .address_space:  global
        .offset:         16
        .size:           8
        .value_kind:     global_buffer
      - .address_space:  global
        .offset:         24
        .size:           8
        .value_kind:     global_buffer
      - .address_space:  global
        .offset:         32
        .size:           8
        .value_kind:     global_buffer
      - .address_space:  global
        .offset:         40
        .size:           8
        .value_kind:     global_buffer
      - .address_space:  global
        .offset:         48
        .size:           8
        .value_kind:     global_buffer
      - .offset:         56
        .size:           4
        .value_kind:     by_value
      - .offset:         60
        .size:           4
        .value_kind:     by_value
      - .offset:         64
        .size:           4
        .value_kind:     by_value
      - .offset:         68
        .size:           4
        .value_kind:     by_value
      - .offset:         72
        .size:           4
        .value_kind:     by_value
      - .offset:         80
        .size:           8
        .value_kind:     by_value
      - .offset:         88
        .size:           4
        .value_kind:     hidden_block_count_x
      - .offset:         92
        .size:           4
        .value_kind:     hidden_block_count_y
      - .offset:         96
        .size:           4
        .value_kind:     hidden_block_count_z
      - .offset:         100
        .size:           2
        .value_kind:     hidden_group_size_x
      - .offset:         102
        .size:           2
        .value_kind:     hidden_group_size_y
      - .offset:         104
        .size:           2
        .value_kind:     hidden_group_size_z
      - .offset:         106
        .size:           2
        .value_kind:     hidden_remainder_x
      - .offset:         108
        .size:           2
        .value_kind:     hidden_remainder_y
      - .offset:         110
        .size:           2
        .value_kind:     hidden_remainder_z
      - .offset:         128
        .size:           8
        .value_kind:     hidden_global_offset_x
      - .offset:         136
        .size:           8
        .value_kind:     hidden_global_offset_y
      - .offset:         144
        .size:           8
        .value_kind:     hidden_global_offset_z
      - .offset:         152
        .size:           2
        .value_kind:     hidden_grid_dims
    .group_segment_fixed_size: 0
    .kernarg_segment_align: 8
    .kernarg_segment_size: 344
    .language:       OpenCL C
    .language_version:
      - 2
      - 0
    .max_flat_workgroup_size: 1024
    .name:           TransformersAdamWContiguous
    .private_segment_fixed_size: 0
    .sgpr_count:     33
    .sgpr_spill_count: 0
    .symbol:         TransformersAdamWContiguous.kd
    .uniform_work_group_size: 1
    .uses_dynamic_stack: false
    .vgpr_count:     33
    .vgpr_spill_count: 0
    .wavefront_size: 64
  - .agpr_count:     0
    .args:
      - .address_space:  global
        .offset:         0
        .size:           8
        .value_kind:     global_buffer
      - .address_space:  global
        .offset:         8
        .size:           8
        .value_kind:     global_buffer
      - .address_space:  global
        .offset:         16
        .size:           8
        .value_kind:     global_buffer
      - .address_space:  global
        .offset:         24
        .size:           8
        .value_kind:     global_buffer
      - .address_space:  global
        .offset:         32
        .size:           8
        .value_kind:     global_buffer
      - .address_space:  global
        .offset:         40
        .size:           8
        .value_kind:     global_buffer
      - .address_space:  global
        .offset:         48
        .size:           8
        .value_kind:     global_buffer
      - .address_space:  global
        .offset:         56
        .size:           8
        .value_kind:     global_buffer
      - .address_space:  global
        .offset:         64
        .size:           8
        .value_kind:     global_buffer
      - .address_space:  global
        .offset:         72
        .size:           8
        .value_kind:     global_buffer
      - .offset:         80
        .size:           4
        .value_kind:     by_value
      - .offset:         84
        .size:           4
        .value_kind:     by_value
      - .offset:         88
        .size:           4
        .value_kind:     by_value
      - .offset:         92
        .size:           4
        .value_kind:     by_value
      - .offset:         96
        .size:           4
        .value_kind:     by_value
      - .offset:         104
        .size:           8
        .value_kind:     by_value
      - .offset:         112
        .size:           4
        .value_kind:     hidden_block_count_x
      - .offset:         116
        .size:           4
        .value_kind:     hidden_block_count_y
      - .offset:         120
        .size:           4
        .value_kind:     hidden_block_count_z
      - .offset:         124
        .size:           2
        .value_kind:     hidden_group_size_x
      - .offset:         126
        .size:           2
        .value_kind:     hidden_group_size_y
      - .offset:         128
        .size:           2
        .value_kind:     hidden_group_size_z
      - .offset:         130
        .size:           2
        .value_kind:     hidden_remainder_x
      - .offset:         132
        .size:           2
        .value_kind:     hidden_remainder_y
      - .offset:         134
        .size:           2
        .value_kind:     hidden_remainder_z
      - .offset:         152
        .size:           8
        .value_kind:     hidden_global_offset_x
      - .offset:         160
        .size:           8
        .value_kind:     hidden_global_offset_y
      - .offset:         168
        .size:           8
        .value_kind:     hidden_global_offset_z
      - .offset:         176
        .size:           2
        .value_kind:     hidden_grid_dims
    .group_segment_fixed_size: 0
    .kernarg_segment_align: 8
    .kernarg_segment_size: 368
    .language:       OpenCL C
    .language_version:
      - 2
      - 0
    .max_flat_workgroup_size: 1024
    .name:           TransformersAmpAdamWContiguous
    .private_segment_fixed_size: 0
    .sgpr_count:     41
    .sgpr_spill_count: 0
    .symbol:         TransformersAmpAdamWContiguous.kd
    .uniform_work_group_size: 1
    .uses_dynamic_stack: false
    .vgpr_count:     36
    .vgpr_spill_count: 0
    .wavefront_size: 64
  - .agpr_count:     0
    .args:
      - .address_space:  global
        .offset:         0
        .size:           8
        .value_kind:     global_buffer
      - .address_space:  global
        .offset:         8
        .size:           8
        .value_kind:     global_buffer
      - .address_space:  global
        .offset:         16
        .size:           8
        .value_kind:     global_buffer
      - .address_space:  global
        .offset:         24
        .size:           8
        .value_kind:     global_buffer
      - .address_space:  global
        .offset:         32
        .size:           8
        .value_kind:     global_buffer
      - .address_space:  global
        .offset:         40
        .size:           8
        .value_kind:     global_buffer
      - .address_space:  global
        .offset:         48
        .size:           8
        .value_kind:     global_buffer
      - .address_space:  global
        .offset:         56
        .size:           8
        .value_kind:     global_buffer
      - .address_space:  global
        .offset:         64
        .size:           8
        .value_kind:     global_buffer
      - .address_space:  global
        .offset:         72
        .size:           8
        .value_kind:     global_buffer
      - .address_space:  global
        .offset:         80
        .size:           8
        .value_kind:     global_buffer
      - .offset:         88
        .size:           4
        .value_kind:     by_value
      - .offset:         92
        .size:           4
        .value_kind:     by_value
      - .offset:         96
        .size:           4
        .value_kind:     by_value
      - .offset:         100
        .size:           4
        .value_kind:     by_value
      - .offset:         104
        .size:           4
        .value_kind:     by_value
      - .offset:         108
        .size:           4
        .value_kind:     by_value
      - .offset:         112
        .size:           1
        .value_kind:     by_value
      - .offset:         120
        .size:           8
        .value_kind:     by_value
      - .offset:         128
        .size:           4
        .value_kind:     hidden_block_count_x
      - .offset:         132
        .size:           4
        .value_kind:     hidden_block_count_y
      - .offset:         136
        .size:           4
        .value_kind:     hidden_block_count_z
      - .offset:         140
        .size:           2
        .value_kind:     hidden_group_size_x
      - .offset:         142
        .size:           2
        .value_kind:     hidden_group_size_y
      - .offset:         144
        .size:           2
        .value_kind:     hidden_group_size_z
      - .offset:         146
        .size:           2
        .value_kind:     hidden_remainder_x
      - .offset:         148
        .size:           2
        .value_kind:     hidden_remainder_y
      - .offset:         150
        .size:           2
        .value_kind:     hidden_remainder_z
      - .offset:         168
        .size:           8
        .value_kind:     hidden_global_offset_x
      - .offset:         176
        .size:           8
        .value_kind:     hidden_global_offset_y
      - .offset:         184
        .size:           8
        .value_kind:     hidden_global_offset_z
      - .offset:         192
        .size:           2
        .value_kind:     hidden_grid_dims
    .group_segment_fixed_size: 0
    .kernarg_segment_align: 8
    .kernarg_segment_size: 384
    .language:       OpenCL C
    .language_version:
      - 2
      - 0
    .max_flat_workgroup_size: 1024
    .name:           TransformersAmpAdamWContiguousWithStep
    .private_segment_fixed_size: 0
    .sgpr_count:     95
    .sgpr_spill_count: 0
    .symbol:         TransformersAmpAdamWContiguousWithStep.kd
    .uniform_work_group_size: 1
    .uses_dynamic_stack: false
    .vgpr_count:     39
    .vgpr_spill_count: 0
    .wavefront_size: 64
amdhsa.target:   amdgcn-amd-amdhsa--gfx90a
amdhsa.version:
  - 1
  - 2
...

	.end_amdgpu_metadata
